;; amdgpu-corpus repo=pytorch/pytorch kind=compiled arch=gfx90a opt=O3
	.text
	.amdgcn_target "amdgcn-amd-amdhsa--gfx90a"
	.amdhsa_code_object_version 6
	.section	.text._ZN2at6native12_GLOBAL__N_129ctc_loss_log_alpha_gpu_kernelIdlEEvPT_PKS3_PKllPKT0_S8_lS4_llllllS8_lll,"axG",@progbits,_ZN2at6native12_GLOBAL__N_129ctc_loss_log_alpha_gpu_kernelIdlEEvPT_PKS3_PKllPKT0_S8_lS4_llllllS8_lll,comdat
	.globl	_ZN2at6native12_GLOBAL__N_129ctc_loss_log_alpha_gpu_kernelIdlEEvPT_PKS3_PKllPKT0_S8_lS4_llllllS8_lll ; -- Begin function _ZN2at6native12_GLOBAL__N_129ctc_loss_log_alpha_gpu_kernelIdlEEvPT_PKS3_PKllPKT0_S8_lS4_llllllS8_lll
	.p2align	8
	.type	_ZN2at6native12_GLOBAL__N_129ctc_loss_log_alpha_gpu_kernelIdlEEvPT_PKS3_PKllPKT0_S8_lS4_llllllS8_lll,@function
_ZN2at6native12_GLOBAL__N_129ctc_loss_log_alpha_gpu_kernelIdlEEvPT_PKS3_PKllPKT0_S8_lS4_llllllS8_lll: ; @_ZN2at6native12_GLOBAL__N_129ctc_loss_log_alpha_gpu_kernelIdlEEvPT_PKS3_PKllPKT0_S8_lS4_llllllS8_lll
; %bb.0:
	s_load_dword s0, s[4:5], 0x9c
	s_load_dwordx4 s[16:19], s[4:5], 0x78
	s_add_u32 s2, s4, 0x90
	s_addc_u32 s3, s5, 0
	v_bfe_u32 v1, v0, 10, 10
	s_waitcnt lgkmcnt(0)
	s_lshr_b32 s0, s0, 16
	s_mul_i32 s7, s7, s0
	v_add_u32_e32 v8, s7, v1
	v_mov_b32_e32 v9, 0
	v_cmp_gt_i64_e32 vcc, s[18:19], v[8:9]
	s_and_saveexec_b64 s[0:1], vcc
	s_cbranch_execz .LBB0_56
; %bb.1:
	s_load_dwordx2 s[0:1], s[4:5], 0x10
	s_load_dwordx2 s[6:7], s[4:5], 0x28
	;; [unrolled: 1-line block ×3, first 2 shown]
	v_lshlrev_b64 v[2:3], 3, v[8:9]
	s_waitcnt lgkmcnt(0)
	v_mov_b32_e32 v1, s1
	v_add_co_u32_e32 v4, vcc, s0, v2
	v_addc_co_u32_e32 v5, vcc, v1, v3, vcc
	global_load_dwordx2 v[6:7], v[4:5], off
	v_mov_b32_e32 v1, s7
	v_add_co_u32_e32 v4, vcc, s6, v2
	v_addc_co_u32_e32 v5, vcc, v1, v3, vcc
	global_load_dwordx2 v[4:5], v[4:5], off
	s_waitcnt vmcnt(1)
	v_cmp_ne_u64_e32 vcc, 0, v[6:7]
	s_and_saveexec_b64 s[0:1], vcc
	s_xor_b64 s[28:29], exec, s[0:1]
	s_cbranch_execz .LBB0_53
; %bb.2:
	s_load_dwordx2 s[0:1], s[4:5], 0x70
	s_load_dwordx4 s[20:23], s[4:5], 0x60
	s_waitcnt lgkmcnt(0)
	v_mov_b32_e32 v1, s1
	v_add_co_u32_e32 v10, vcc, s0, v2
	v_addc_co_u32_e32 v11, vcc, v1, v3, vcc
	global_load_dwordx2 v[10:11], v[10:11], off
	s_load_dwordx4 s[24:27], s[4:5], 0x0
	s_load_dwordx2 s[6:7], s[4:5], 0x20
	s_load_dwordx8 s[8:15], s[4:5], 0x40
	s_load_dwordx2 s[30:31], s[4:5], 0x88
	s_load_dwordx2 s[36:37], s[4:5], 0x30
	s_mov_b64 s[0:1], -1
	s_waitcnt lgkmcnt(0)
	v_mad_u64_u32 v[12:13], s[34:35], v8, s10, 0
	v_mad_u64_u32 v[14:15], s[34:35], v8, s14, 0
	v_mov_b32_e32 v16, v13
	v_mov_b32_e32 v18, v15
	v_mad_u64_u32 v[16:17], s[10:11], v8, s11, v[16:17]
	v_mad_u64_u32 v[8:9], s[10:11], v8, s15, v[18:19]
	s_lshl_b64 s[34:35], s[36:37], 1
	v_cmp_gt_i64_e64 s[36:37], s[36:37], -1
	v_mov_b32_e32 v13, v16
	v_mov_b32_e32 v15, v8
	s_and_b64 vcc, exec, s[36:37]
	v_lshlrev_b64 v[16:17], 3, v[12:13]
	v_lshlrev_b64 v[8:9], 3, v[14:15]
	s_waitcnt vmcnt(0)
	v_lshlrev_b64 v[12:13], 3, v[10:11]
	s_cbranch_vccz .LBB0_17
; %bb.3:
	s_load_dword s14, s[2:3], 0xc
	v_and_b32_e32 v10, 0x3ff, v0
	v_mov_b32_e32 v1, s7
	v_add_co_u32_e32 v14, vcc, s6, v12
	s_waitcnt lgkmcnt(0)
	s_and_b32 s33, s14, 0xffff
	v_mad_u64_u32 v[18:19], s[14:15], s22, v10, 0
	v_mov_b32_e32 v20, v19
	v_addc_co_u32_e32 v15, vcc, v1, v13, vcc
	v_mad_u64_u32 v[20:21], s[14:15], s23, v10, v[20:21]
	v_mov_b32_e32 v11, s27
	v_add_co_u32_e32 v1, vcc, s26, v16
	v_mov_b32_e32 v19, v20
	v_addc_co_u32_e32 v11, vcc, v11, v17, vcc
	v_lshlrev_b64 v[18:19], 3, v[18:19]
	v_add_co_u32_e32 v18, vcc, v18, v8
	v_addc_co_u32_e32 v19, vcc, v19, v9, vcc
	s_mul_i32 s14, s23, s33
	s_mul_hi_u32 s15, s22, s33
	v_mov_b32_e32 v20, s25
	v_add_co_u32_e32 v18, vcc, s24, v18
	s_add_i32 s15, s15, s14
	s_mul_i32 s14, s22, s33
	s_mov_b64 s[10:11], 0
	v_cmp_ne_u64_e64 s[0:1], 0, v[4:5]
	v_addc_co_u32_e32 v19, vcc, v20, v19, vcc
	s_lshl_b64 s[14:15], s[14:15], 3
	s_branch .LBB0_5
.LBB0_4:                                ;   in Loop: Header=BB0_5 Depth=1
	s_or_b64 exec, exec, s[38:39]
	s_add_u32 s10, s10, s33
	v_mov_b32_e32 v20, s15
	v_add_co_u32_e32 v18, vcc, s14, v18
	s_addc_u32 s11, s11, 0
	v_addc_co_u32_e32 v19, vcc, v19, v20, vcc
	v_pk_mov_b32 v[20:21], s[34:35], s[34:35] op_sel:[0,1]
	v_cmp_gt_i64_e32 vcc, s[10:11], v[20:21]
	s_cbranch_vccnz .LBB0_18
.LBB0_5:                                ; =>This Inner Loop Header: Depth=1
	v_mov_b32_e32 v21, s11
	v_add_co_u32_e32 v20, vcc, s10, v10
	v_addc_co_u32_e32 v21, vcc, 0, v21, vcc
	v_cmp_lt_i64_e32 vcc, 0, v[20:21]
	s_mov_b64 s[40:41], 0
                                        ; implicit-def: $vgpr22_vgpr23
                                        ; implicit-def: $sgpr42_sgpr43
	s_and_saveexec_b64 s[38:39], vcc
	s_xor_b64 s[38:39], exec, s[38:39]
	s_cbranch_execz .LBB0_13
; %bb.6:                                ;   in Loop: Header=BB0_5 Depth=1
	v_cmp_eq_u64_e32 vcc, 1, v[20:21]
	s_mov_b64 s[44:45], 0
                                        ; implicit-def: $vgpr22_vgpr23
	s_and_saveexec_b64 s[40:41], vcc
	s_cbranch_execz .LBB0_10
; %bb.7:                                ;   in Loop: Header=BB0_5 Depth=1
	s_mov_b64 s[42:43], 0
                                        ; implicit-def: $vgpr22_vgpr23
	s_and_saveexec_b64 s[44:45], s[0:1]
	s_xor_b64 s[44:45], exec, s[44:45]
	s_cbranch_execz .LBB0_9
; %bb.8:                                ;   in Loop: Header=BB0_5 Depth=1
	global_load_dwordx2 v[22:23], v[14:15], off
	s_mov_b64 s[42:43], exec
.LBB0_9:                                ;   in Loop: Header=BB0_5 Depth=1
	s_or_b64 exec, exec, s[44:45]
	s_and_b64 s[44:45], s[42:43], exec
.LBB0_10:                               ;   in Loop: Header=BB0_5 Depth=1
	s_or_b64 exec, exec, s[40:41]
	s_mov_b32 s42, 0
	s_mov_b32 s43, 0xfff00000
	s_and_b64 s[40:41], s[44:45], exec
	s_or_saveexec_b64 s[38:39], s[38:39]
	s_waitcnt vmcnt(0)
	v_pk_mov_b32 v[24:25], s[42:43], s[42:43] op_sel:[0,1]
	s_xor_b64 exec, exec, s[38:39]
	s_cbranch_execnz .LBB0_14
.LBB0_11:                               ;   in Loop: Header=BB0_5 Depth=1
	s_or_b64 exec, exec, s[38:39]
	s_and_saveexec_b64 s[38:39], s[40:41]
	s_cbranch_execz .LBB0_15
.LBB0_12:                               ;   in Loop: Header=BB0_5 Depth=1
	s_waitcnt vmcnt(0)
	v_mul_lo_u32 v24, v23, s12
	v_mul_lo_u32 v25, v22, s13
	v_mad_u64_u32 v[22:23], s[40:41], v22, s12, 0
	v_add3_u32 v23, v23, v25, v24
	v_lshlrev_b64 v[22:23], 3, v[22:23]
	v_add_co_u32_e32 v22, vcc, v1, v22
	v_addc_co_u32_e32 v23, vcc, v11, v23, vcc
	global_load_dwordx2 v[24:25], v[22:23], off
	s_or_b64 exec, exec, s[38:39]
	v_cmp_ge_i64_e32 vcc, s[34:35], v[20:21]
	s_and_saveexec_b64 s[38:39], vcc
	s_cbranch_execz .LBB0_4
	s_branch .LBB0_16
.LBB0_13:                               ;   in Loop: Header=BB0_5 Depth=1
	s_or_saveexec_b64 s[38:39], s[38:39]
	s_waitcnt vmcnt(0)
	v_pk_mov_b32 v[24:25], s[42:43], s[42:43] op_sel:[0,1]
	s_xor_b64 exec, exec, s[38:39]
	s_cbranch_execz .LBB0_11
.LBB0_14:                               ;   in Loop: Header=BB0_5 Depth=1
	v_cmp_eq_u64_e32 vcc, 0, v[20:21]
	v_mov_b32_e32 v24, 0
	s_andn2_b64 s[40:41], s[40:41], exec
	s_and_b64 s[42:43], vcc, exec
	s_waitcnt vmcnt(0)
	v_pk_mov_b32 v[22:23], s[30:31], s[30:31] op_sel:[0,1]
	v_mov_b32_e32 v25, 0xfff00000
	s_or_b64 s[40:41], s[40:41], s[42:43]
	s_or_b64 exec, exec, s[38:39]
	s_and_saveexec_b64 s[38:39], s[40:41]
	s_cbranch_execnz .LBB0_12
.LBB0_15:                               ;   in Loop: Header=BB0_5 Depth=1
	s_or_b64 exec, exec, s[38:39]
	v_cmp_ge_i64_e32 vcc, s[34:35], v[20:21]
	s_and_saveexec_b64 s[38:39], vcc
	s_cbranch_execz .LBB0_4
.LBB0_16:                               ;   in Loop: Header=BB0_5 Depth=1
	s_waitcnt vmcnt(0)
	global_store_dwordx2 v[18:19], v[24:25], off
	s_branch .LBB0_4
.LBB0_17:
                                        ; implicit-def: $vgpr10
	s_and_b64 vcc, exec, s[0:1]
	s_cbranch_vccnz .LBB0_19
	s_branch .LBB0_20
.LBB0_18:
	s_branch .LBB0_20
.LBB0_19:
	v_and_b32_e32 v10, 0x3ff, v0
.LBB0_20:
	s_andn2_b64 vcc, exec, s[36:37]
	v_cmp_lt_i64_e64 s[0:1], 0, v[4:5]
	s_cbranch_vccnz .LBB0_48
; %bb.21:
	v_add_co_u32_e32 v11, vcc, s6, v12
	s_load_dwordx2 s[10:11], s[4:5], 0x18
	s_load_dword s6, s[2:3], 0xc
	v_mad_u64_u32 v[14:15], s[2:3], s22, v10, 0
	v_mov_b32_e32 v18, v15
	v_mad_u64_u32 v[18:19], s[2:3], s23, v10, v[18:19]
	s_waitcnt lgkmcnt(0)
	s_and_b32 s33, s6, 0xffff
	s_lshl_b64 s[38:39], s[20:21], 3
	v_mov_b32_e32 v0, s7
	v_mov_b32_e32 v15, v18
	s_add_u32 s2, s24, s38
	v_addc_co_u32_e32 v54, vcc, v0, v13, vcc
	v_lshlrev_b64 v[18:19], 3, v[14:15]
	s_addc_u32 s3, s25, s39
	v_mov_b32_e32 v1, s3
	v_add_co_u32_e32 v14, vcc, s2, v18
	s_mul_i32 s2, s23, s33
	s_mul_hi_u32 s3, s22, s33
	s_add_i32 s3, s3, s2
	s_mul_i32 s2, s22, s33
	s_lshl_b64 s[40:41], s[2:3], 3
	s_lshl_b64 s[8:9], s[8:9], 3
	s_add_u32 s2, s26, s8
	v_addc_co_u32_e32 v15, vcc, v1, v19, vcc
	s_addc_u32 s3, s27, s9
	v_mov_b32_e32 v1, s3
	v_add_co_u32_e32 v16, vcc, s2, v16
	v_addc_co_u32_e32 v17, vcc, v1, v17, vcc
	v_mov_b32_e32 v1, s25
	v_add_co_u32_e32 v18, vcc, s24, v18
	v_addc_co_u32_e32 v19, vcc, v1, v19, vcc
	v_add_co_u32_e32 v1, vcc, -2, v10
	v_addc_co_u32_e64 v20, s[2:3], 0, -1, vcc
	s_waitcnt vmcnt(0)
	v_mul_lo_u32 v22, s23, v1
	v_mul_lo_u32 v23, s22, v20
	v_mad_u64_u32 v[20:21], s[2:3], s22, v1, 0
	v_add3_u32 v21, v21, v23, v22
	v_lshlrev_b64 v[20:21], 3, v[20:21]
	v_mov_b32_e32 v1, s25
	v_add_co_u32_e32 v20, vcc, s24, v20
	v_addc_co_u32_e32 v21, vcc, v1, v21, vcc
	v_add_co_u32_e32 v1, vcc, -1, v10
	v_addc_co_u32_e64 v22, s[2:3], 0, -1, vcc
	v_mul_lo_u32 v24, s23, v1
	v_mul_lo_u32 v25, s22, v22
	v_mad_u64_u32 v[22:23], s[2:3], s22, v1, 0
	v_add3_u32 v23, v23, v25, v24
	v_lshlrev_b64 v[22:23], 3, v[22:23]
	v_mov_b32_e32 v1, s25
	v_add_co_u32_e32 v22, vcc, s24, v22
	s_mov_b32 s26, 0
	s_mov_b32 s42, 0x652b82fe
	;; [unrolled: 1-line block ×18, first 2 shown]
	v_mov_b32_e32 v0, 0
	v_lshlrev_b64 v[12:13], 1, v[4:5]
	s_mov_b64 s[14:15], 0
	v_cmp_gt_i64_e64 s[36:37], s[10:11], 1
	s_lshl_b64 s[12:13], s[12:13], 3
	v_addc_co_u32_e32 v23, vcc, v1, v23, vcc
	s_mov_b32 s27, 0xfff00000
	s_mov_b32 s43, 0x3ff71547
	;; [unrolled: 1-line block ×20, first 2 shown]
	s_movk_i32 s92, 0x204
	v_mov_b32_e32 v55, 0x7ff00000
	v_mov_b32_e32 v24, 0x6b47b09a
	;; [unrolled: 1-line block ×15, first 2 shown]
	s_branch .LBB0_23
.LBB0_22:                               ;   in Loop: Header=BB0_23 Depth=1
	v_mov_b32_e32 v1, s41
	v_add_co_u32_e32 v14, vcc, s40, v14
	v_addc_co_u32_e32 v15, vcc, v15, v1, vcc
	v_add_co_u32_e32 v18, vcc, s40, v18
	v_addc_co_u32_e32 v19, vcc, v19, v1, vcc
	;; [unrolled: 2-line block ×3, first 2 shown]
	s_add_u32 s14, s14, s33
	v_add_co_u32_e32 v22, vcc, s40, v22
	s_addc_u32 s15, s15, 0
	v_addc_co_u32_e32 v23, vcc, v23, v1, vcc
	v_pk_mov_b32 v[36:37], s[34:35], s[34:35] op_sel:[0,1]
	v_cmp_gt_i64_e32 vcc, s[14:15], v[36:37]
	s_cbranch_vccnz .LBB0_48
.LBB0_23:                               ; =>This Loop Header: Depth=1
                                        ;     Child Loop BB0_34 Depth 2
	v_mov_b32_e32 v1, s15
	v_add_co_u32_e32 v36, vcc, s14, v10
	v_addc_co_u32_e32 v37, vcc, 0, v1, vcc
	v_cmp_le_i64_e64 s[4:5], v[36:37], v[12:13]
	s_and_b64 s[2:3], s[0:1], s[4:5]
	s_waitcnt vmcnt(0)
	v_pk_mov_b32 v[38:39], s[30:31], s[30:31] op_sel:[0,1]
	s_mov_b64 s[80:81], 0
	s_and_saveexec_b64 s[6:7], s[2:3]
	s_cbranch_execz .LBB0_31
; %bb.24:                               ;   in Loop: Header=BB0_23 Depth=1
	v_and_b32_e32 v1, 1, v36
	v_cmp_eq_u32_e32 vcc, 1, v1
	v_pk_mov_b32 v[38:39], s[30:31], s[30:31] op_sel:[0,1]
	s_and_saveexec_b64 s[80:81], vcc
	s_cbranch_execz .LBB0_26
; %bb.25:                               ;   in Loop: Header=BB0_23 Depth=1
	v_alignbit_b32 v1, v37, v36, 1
	v_mul_lo_u32 v40, v1, s17
	v_mad_u64_u32 v[38:39], s[2:3], v1, s16, 0
	v_lshrrev_b32_e32 v1, 1, v37
	v_mul_lo_u32 v1, v1, s16
	v_add3_u32 v39, v39, v40, v1
	v_lshlrev_b64 v[38:39], 3, v[38:39]
	v_add_co_u32_e64 v38, s[2:3], v11, v38
	v_addc_co_u32_e64 v39, s[2:3], v54, v39, s[2:3]
	global_load_dwordx2 v[38:39], v[38:39], off
.LBB0_26:                               ;   in Loop: Header=BB0_23 Depth=1
	s_or_b64 exec, exec, s[80:81]
	v_cmp_lt_u64_e64 s[2:3], 1, v[36:37]
	s_mov_b64 s[82:83], 0
	s_and_saveexec_b64 s[80:81], s[2:3]
	s_cbranch_execz .LBB0_30
; %bb.27:                               ;   in Loop: Header=BB0_23 Depth=1
	v_pk_mov_b32 v[40:41], s[30:31], s[30:31] op_sel:[0,1]
	s_and_saveexec_b64 s[2:3], vcc
	s_cbranch_execz .LBB0_29
; %bb.28:                               ;   in Loop: Header=BB0_23 Depth=1
	v_add_co_u32_e32 v1, vcc, -2, v36
	v_addc_co_u32_e32 v41, vcc, -1, v37, vcc
	v_lshrrev_b32_e32 v40, 31, v41
	v_add_co_u32_e32 v40, vcc, v1, v40
	v_addc_co_u32_e32 v41, vcc, 0, v41, vcc
	v_ashrrev_i64 v[40:41], 1, v[40:41]
	v_mul_lo_u32 v1, v41, s16
	v_mul_lo_u32 v42, v40, s17
	v_mad_u64_u32 v[40:41], s[82:83], v40, s16, 0
	v_add3_u32 v41, v41, v42, v1
	v_lshlrev_b64 v[40:41], 3, v[40:41]
	v_add_co_u32_e32 v40, vcc, v11, v40
	v_addc_co_u32_e32 v41, vcc, v54, v41, vcc
	global_load_dwordx2 v[40:41], v[40:41], off
.LBB0_29:                               ;   in Loop: Header=BB0_23 Depth=1
	s_or_b64 exec, exec, s[2:3]
	s_waitcnt vmcnt(0)
	v_cmp_ne_u64_e32 vcc, v[40:41], v[38:39]
	s_and_b64 s[82:83], vcc, exec
.LBB0_30:                               ;   in Loop: Header=BB0_23 Depth=1
	s_or_b64 exec, exec, s[80:81]
	s_and_b64 s[80:81], s[82:83], exec
.LBB0_31:                               ;   in Loop: Header=BB0_23 Depth=1
	s_or_b64 exec, exec, s[6:7]
	s_andn2_b64 vcc, exec, s[36:37]
	s_cbranch_vccnz .LBB0_22
; %bb.32:                               ;   in Loop: Header=BB0_23 Depth=1
	v_cmp_ge_i64_e32 vcc, s[34:35], v[36:37]
	v_cmp_ne_u64_e64 s[2:3], 0, v[36:37]
	s_waitcnt vmcnt(0)
	v_mad_u64_u32 v[36:37], s[6:7], s12, v38, v[16:17]
	v_mul_lo_u32 v1, s12, v39
	v_mul_lo_u32 v38, s13, v38
	v_add3_u32 v37, v38, v37, v1
	s_mov_b64 s[82:83], 1
	s_xor_b64 s[84:85], s[4:5], -1
	v_pk_mov_b32 v[38:39], v[22:23], v[22:23] op_sel:[0,1]
	v_pk_mov_b32 v[40:41], v[20:21], v[20:21] op_sel:[0,1]
	v_pk_mov_b32 v[42:43], v[18:19], v[18:19] op_sel:[0,1]
	v_pk_mov_b32 v[44:45], v[14:15], v[14:15] op_sel:[0,1]
	s_branch .LBB0_34
.LBB0_33:                               ;   in Loop: Header=BB0_34 Depth=2
	s_or_b64 exec, exec, s[6:7]
	v_mov_b32_e32 v1, s39
	v_add_co_u32_e64 v44, s[4:5], s38, v44
	v_addc_co_u32_e64 v45, s[4:5], v45, v1, s[4:5]
	v_mov_b32_e32 v46, s9
	v_add_co_u32_e64 v36, s[4:5], s8, v36
	v_addc_co_u32_e64 v37, s[4:5], v37, v46, s[4:5]
	v_add_co_u32_e64 v42, s[4:5], s38, v42
	v_addc_co_u32_e64 v43, s[4:5], v43, v1, s[4:5]
	v_add_co_u32_e64 v40, s[4:5], s38, v40
	s_add_u32 s82, s82, 1
	v_addc_co_u32_e64 v41, s[4:5], v41, v1, s[4:5]
	s_addc_u32 s83, s83, 0
	v_add_co_u32_e64 v38, s[4:5], s38, v38
	s_cmp_eq_u64 s[10:11], s[82:83]
	v_addc_co_u32_e64 v39, s[4:5], v39, v1, s[4:5]
	s_cbranch_scc1 .LBB0_22
.LBB0_34:                               ;   Parent Loop BB0_23 Depth=1
                                        ; =>  This Inner Loop Header: Depth=2
	v_cmp_ge_i64_e64 s[4:5], s[82:83], v[6:7]
	s_or_b64 s[6:7], s[84:85], s[4:5]
	s_mov_b64 s[86:87], 0
	s_barrier
	s_waitcnt lgkmcnt(0)
                                        ; implicit-def: $sgpr4_sgpr5
	s_and_saveexec_b64 s[88:89], s[6:7]
	s_xor_b64 s[6:7], exec, s[88:89]
	s_cbranch_execz .LBB0_37
; %bb.35:                               ;   in Loop: Header=BB0_34 Depth=2
	s_mov_b32 s4, 0
	s_mov_b32 s5, 0xfff00000
	s_and_b64 s[86:87], vcc, exec
	s_or_saveexec_b64 s[88:89], s[6:7]
	v_pk_mov_b32 v[46:47], s[4:5], s[4:5] op_sel:[0,1]
	s_xor_b64 exec, exec, s[88:89]
	s_cbranch_execnz .LBB0_38
.LBB0_36:                               ;   in Loop: Header=BB0_34 Depth=2
	s_or_b64 exec, exec, s[88:89]
	s_and_saveexec_b64 s[6:7], s[86:87]
	s_cbranch_execz .LBB0_33
	s_branch .LBB0_47
.LBB0_37:                               ;   in Loop: Header=BB0_34 Depth=2
	s_or_saveexec_b64 s[88:89], s[6:7]
	v_pk_mov_b32 v[46:47], s[4:5], s[4:5] op_sel:[0,1]
	s_xor_b64 exec, exec, s[88:89]
	s_cbranch_execz .LBB0_36
.LBB0_38:                               ;   in Loop: Header=BB0_34 Depth=2
	v_add_co_u32_e64 v46, s[4:5], v42, v8
	v_addc_co_u32_e64 v47, s[4:5], v43, v9, s[4:5]
	global_load_dwordx2 v[52:53], v[46:47], off
	v_mov_b32_e32 v48, 0
	v_mov_b32_e32 v49, 0xfff00000
	v_pk_mov_b32 v[50:51], v[48:49], v[48:49] op_sel:[0,1]
	s_waitcnt vmcnt(0)
	v_pk_mov_b32 v[46:47], v[52:53], v[52:53] op_sel:[0,1]
	s_and_saveexec_b64 s[6:7], s[2:3]
	s_cbranch_execz .LBB0_42
; %bb.39:                               ;   in Loop: Header=BB0_34 Depth=2
	v_add_co_u32_e64 v46, s[4:5], v38, v8
	v_addc_co_u32_e64 v47, s[4:5], v39, v9, s[4:5]
	global_load_dwordx2 v[50:51], v[46:47], off
	v_pk_mov_b32 v[46:47], v[52:53], v[52:53] op_sel:[0,1]
	s_waitcnt vmcnt(0)
	v_cmp_gt_f64_e64 s[4:5], v[50:51], v[52:53]
	s_and_saveexec_b64 s[90:91], s[4:5]
; %bb.40:                               ;   in Loop: Header=BB0_34 Depth=2
	v_pk_mov_b32 v[46:47], v[50:51], v[50:51] op_sel:[0,1]
; %bb.41:                               ;   in Loop: Header=BB0_34 Depth=2
	s_or_b64 exec, exec, s[90:91]
.LBB0_42:                               ;   in Loop: Header=BB0_34 Depth=2
	s_or_b64 exec, exec, s[6:7]
	s_and_saveexec_b64 s[6:7], s[80:81]
	s_cbranch_execz .LBB0_46
; %bb.43:                               ;   in Loop: Header=BB0_34 Depth=2
	v_add_co_u32_e64 v48, s[4:5], v40, v8
	v_addc_co_u32_e64 v49, s[4:5], v41, v9, s[4:5]
	global_load_dwordx2 v[48:49], v[48:49], off
	s_waitcnt vmcnt(0)
	v_cmp_gt_f64_e64 s[4:5], v[48:49], v[46:47]
	s_and_saveexec_b64 s[90:91], s[4:5]
; %bb.44:                               ;   in Loop: Header=BB0_34 Depth=2
	v_pk_mov_b32 v[46:47], v[48:49], v[48:49] op_sel:[0,1]
; %bb.45:                               ;   in Loop: Header=BB0_34 Depth=2
	s_or_b64 exec, exec, s[90:91]
.LBB0_46:                               ;   in Loop: Header=BB0_34 Depth=2
	s_or_b64 exec, exec, s[6:7]
	v_cmp_neq_f64_e64 s[4:5], s[26:27], v[46:47]
	v_cndmask_b32_e64 v47, 0, v47, s[4:5]
	v_cndmask_b32_e64 v46, 0, v46, s[4:5]
	v_add_f64 v[52:53], v[52:53], -v[46:47]
	v_mul_f64 v[58:59], v[52:53], s[42:43]
	v_rndne_f64_e32 v[58:59], v[58:59]
	v_fma_f64 v[60:61], s[44:45], v[58:59], v[52:53]
	v_fmac_f64_e32 v[60:61], s[46:47], v[58:59]
	v_pk_mov_b32 v[62:63], s[48:49], s[48:49] op_sel:[0,1]
	v_fma_f64 v[64:65], s[50:51], v[60:61], v[62:63]
	v_fma_f64 v[64:65], v[60:61], v[64:65], s[52:53]
	;; [unrolled: 1-line block ×9, first 2 shown]
	v_fma_f64 v[64:65], v[60:61], v[64:65], 1.0
	v_fma_f64 v[60:61], v[60:61], v[64:65], 1.0
	v_cvt_i32_f64_e32 v1, v[58:59]
	v_ldexp_f64 v[58:59], v[60:61], v1
	v_cmp_nlt_f64_e64 s[4:5], s[68:69], v[52:53]
	v_cmp_ngt_f64_e64 s[6:7], s[70:71], v[52:53]
	v_cndmask_b32_e64 v1, v55, v59, s[4:5]
	s_and_b64 s[4:5], s[6:7], s[4:5]
	v_add_f64 v[50:51], v[50:51], -v[46:47]
	v_cndmask_b32_e64 v52, 0, v58, s[4:5]
	v_mul_f64 v[58:59], v[50:51], s[42:43]
	v_rndne_f64_e32 v[58:59], v[58:59]
	v_fma_f64 v[60:61], s[44:45], v[58:59], v[50:51]
	v_fmac_f64_e32 v[60:61], s[46:47], v[58:59]
	v_fma_f64 v[64:65], s[50:51], v[60:61], v[62:63]
	v_fma_f64 v[64:65], v[60:61], v[64:65], s[52:53]
	;; [unrolled: 1-line block ×9, first 2 shown]
	v_fma_f64 v[64:65], v[60:61], v[64:65], 1.0
	v_cndmask_b32_e64 v53, 0, v1, s[6:7]
	v_fma_f64 v[60:61], v[60:61], v[64:65], 1.0
	v_cvt_i32_f64_e32 v1, v[58:59]
	v_ldexp_f64 v[58:59], v[60:61], v1
	v_cmp_nlt_f64_e64 s[4:5], s[68:69], v[50:51]
	v_cmp_ngt_f64_e64 s[6:7], s[70:71], v[50:51]
	v_cndmask_b32_e64 v1, v55, v59, s[4:5]
	s_and_b64 s[4:5], s[6:7], s[4:5]
	v_cndmask_b32_e64 v51, 0, v1, s[6:7]
	v_cndmask_b32_e64 v50, 0, v58, s[4:5]
	v_add_f64 v[48:49], v[48:49], -v[46:47]
	v_add_f64 v[50:51], v[52:53], v[50:51]
	v_mul_f64 v[52:53], v[48:49], s[42:43]
	v_rndne_f64_e32 v[52:53], v[52:53]
	v_fma_f64 v[58:59], s[44:45], v[52:53], v[48:49]
	v_fmac_f64_e32 v[58:59], s[46:47], v[52:53]
	v_fmac_f64_e32 v[62:63], s[50:51], v[58:59]
	v_fma_f64 v[60:61], v[58:59], v[62:63], s[52:53]
	v_fma_f64 v[60:61], v[58:59], v[60:61], s[54:55]
	;; [unrolled: 1-line block ×8, first 2 shown]
	v_fma_f64 v[60:61], v[58:59], v[60:61], 1.0
	v_fma_f64 v[58:59], v[58:59], v[60:61], 1.0
	v_cvt_i32_f64_e32 v1, v[52:53]
	v_ldexp_f64 v[52:53], v[58:59], v1
	v_cmp_nlt_f64_e64 s[4:5], s[68:69], v[48:49]
	v_cmp_ngt_f64_e64 s[6:7], s[70:71], v[48:49]
	v_cndmask_b32_e64 v1, v55, v53, s[4:5]
	s_and_b64 s[4:5], s[6:7], s[4:5]
	v_cndmask_b32_e64 v49, 0, v1, s[6:7]
	v_cndmask_b32_e64 v48, 0, v52, s[4:5]
	v_add_f64 v[48:49], v[48:49], v[50:51]
	v_frexp_mant_f64_e32 v[50:51], v[48:49]
	v_mov_b32_e32 v1, 0x3ff00000
	v_cmp_gt_f64_e64 s[4:5], s[72:73], v[50:51]
	v_cndmask_b32_e64 v1, v1, 2.0, s[4:5]
	v_frexp_exp_i32_f64_e32 v52, v[48:49]
	v_mul_f64 v[50:51], v[50:51], v[0:1]
	v_subbrev_co_u32_e64 v1, s[4:5], 0, v52, s[4:5]
	v_add_f64 v[52:53], v[50:51], 1.0
	v_rcp_f64_e32 v[58:59], v[52:53]
	v_add_f64 v[62:63], v[52:53], -1.0
	v_add_f64 v[60:61], v[50:51], -1.0
	v_add_f64 v[50:51], v[50:51], -v[62:63]
	v_fma_f64 v[62:63], -v[52:53], v[58:59], 1.0
	v_fmac_f64_e32 v[58:59], v[62:63], v[58:59]
	global_load_dwordx2 v[62:63], v[36:37], off
	v_fma_f64 v[64:65], -v[52:53], v[58:59], 1.0
	v_fmac_f64_e32 v[58:59], v[64:65], v[58:59]
	v_mul_f64 v[64:65], v[60:61], v[58:59]
	v_mul_f64 v[66:67], v[52:53], v[64:65]
	v_fma_f64 v[52:53], v[64:65], v[52:53], -v[66:67]
	v_fmac_f64_e32 v[52:53], v[64:65], v[50:51]
	v_add_f64 v[50:51], v[66:67], v[52:53]
	v_add_f64 v[68:69], v[60:61], -v[50:51]
	v_add_f64 v[66:67], v[50:51], -v[66:67]
	;; [unrolled: 1-line block ×5, first 2 shown]
	v_add_f64 v[50:51], v[52:53], v[50:51]
	v_add_f64 v[50:51], v[68:69], v[50:51]
	v_mul_f64 v[50:51], v[58:59], v[50:51]
	v_add_f64 v[52:53], v[64:65], v[50:51]
	v_add_f64 v[58:59], v[52:53], -v[64:65]
	v_add_f64 v[50:51], v[50:51], -v[58:59]
	v_mul_f64 v[58:59], v[52:53], v[52:53]
	v_pk_mov_b32 v[60:61], v[24:25], v[24:25] op_sel:[0,1]
	v_fmac_f64_e32 v[60:61], s[74:75], v[58:59]
	v_pk_mov_b32 v[64:65], v[26:27], v[26:27] op_sel:[0,1]
	v_fmac_f64_e32 v[64:65], v[58:59], v[60:61]
	;; [unrolled: 2-line block ×6, first 2 shown]
	v_ldexp_f64 v[60:61], v[52:53], 1
	v_mul_f64 v[52:53], v[52:53], v[58:59]
	v_mul_f64 v[52:53], v[52:53], v[64:65]
	v_add_f64 v[58:59], v[60:61], v[52:53]
	v_add_f64 v[60:61], v[58:59], -v[60:61]
	v_ldexp_f64 v[50:51], v[50:51], 1
	v_add_f64 v[52:53], v[52:53], -v[60:61]
	v_add_f64 v[50:51], v[50:51], v[52:53]
	v_add_f64 v[52:53], v[58:59], v[50:51]
	v_add_f64 v[58:59], v[52:53], -v[58:59]
	v_add_f64 v[50:51], v[50:51], -v[58:59]
	v_cvt_f64_i32_e32 v[58:59], v1
	s_mov_b32 s76, s44
	v_mul_f64 v[60:61], v[58:59], s[76:77]
	v_fma_f64 v[64:65], v[58:59], s[76:77], -v[60:61]
	s_mov_b32 s78, s46
	v_fmac_f64_e32 v[64:65], s[78:79], v[58:59]
	v_add_f64 v[58:59], v[60:61], v[64:65]
	v_add_f64 v[60:61], v[58:59], -v[60:61]
	v_add_f64 v[60:61], v[64:65], -v[60:61]
	v_add_f64 v[64:65], v[58:59], v[52:53]
	v_add_f64 v[66:67], v[64:65], -v[58:59]
	v_add_f64 v[68:69], v[64:65], -v[66:67]
	;; [unrolled: 1-line block ×4, first 2 shown]
	v_add_f64 v[52:53], v[52:53], v[58:59]
	v_add_f64 v[58:59], v[60:61], v[50:51]
	v_add_f64 v[66:67], v[58:59], -v[60:61]
	v_add_f64 v[68:69], v[58:59], -v[66:67]
	v_add_f64 v[52:53], v[58:59], v[52:53]
	v_add_f64 v[60:61], v[60:61], -v[68:69]
	v_add_f64 v[50:51], v[50:51], -v[66:67]
	v_add_f64 v[58:59], v[64:65], v[52:53]
	v_add_f64 v[50:51], v[50:51], v[60:61]
	v_add_f64 v[60:61], v[58:59], -v[64:65]
	v_add_f64 v[52:53], v[52:53], -v[60:61]
	v_add_f64 v[50:51], v[50:51], v[52:53]
	v_add_f64 v[50:51], v[58:59], v[50:51]
	v_cmp_class_f64_e64 s[4:5], v[48:49], s92
	v_cndmask_b32_e64 v1, v50, v48, s[4:5]
	v_cndmask_b32_e64 v50, v51, v49, s[4:5]
	v_cmp_ngt_f64_e64 s[4:5], 0, v[48:49]
	v_cndmask_b32_e64 v51, v56, v50, s[4:5]
	v_cmp_nge_f64_e64 s[4:5], 0, v[48:49]
	v_cndmask_b32_e64 v50, 0, v1, s[4:5]
	v_cmp_neq_f64_e64 s[4:5], 0, v[48:49]
	v_cndmask_b32_e64 v51, v57, v51, s[4:5]
	v_add_f64 v[46:47], v[46:47], v[50:51]
	s_waitcnt vmcnt(0)
	v_add_f64 v[46:47], v[62:63], v[46:47]
	s_or_b64 s[86:87], s[86:87], exec
	s_or_b64 exec, exec, s[88:89]
	s_and_saveexec_b64 s[6:7], s[86:87]
	s_cbranch_execz .LBB0_33
.LBB0_47:                               ;   in Loop: Header=BB0_34 Depth=2
	v_add_co_u32_e64 v48, s[4:5], v44, v8
	v_addc_co_u32_e64 v49, s[4:5], v45, v9, s[4:5]
	global_store_dwordx2 v[48:49], v[46:47], off
	s_branch .LBB0_33
.LBB0_48:
	v_cmp_eq_u32_e32 vcc, 0, v10
	s_barrier
	s_and_saveexec_b64 s[2:3], vcc
	s_cbranch_execz .LBB0_52
; %bb.49:
	v_add_co_u32_e32 v0, vcc, -1, v6
	v_addc_co_u32_e32 v1, vcc, -1, v7, vcc
	v_mul_lo_u32 v1, v1, s20
	v_mul_lo_u32 v10, v0, s21
	v_mad_u64_u32 v[6:7], s[0:1], v0, s20, 0
	v_add3_u32 v7, v7, v10, v1
	v_mul_lo_u32 v10, v5, s22
	v_mul_lo_u32 v11, v4, s23
	v_mad_u64_u32 v[0:1], s[0:1], v4, s22, 0
	v_add3_u32 v1, v1, v11, v10
	v_mov_b32_e32 v10, s25
	v_add_co_u32_e32 v8, vcc, s24, v8
	v_addc_co_u32_e32 v9, vcc, v10, v9, vcc
	v_lshlrev_b64 v[6:7], 3, v[6:7]
	v_add_co_u32_e32 v10, vcc, v8, v6
	v_addc_co_u32_e32 v11, vcc, v9, v7, vcc
	v_lshlrev_b64 v[6:7], 4, v[0:1]
	v_add_co_u32_e32 v6, vcc, v10, v6
	v_addc_co_u32_e32 v7, vcc, v11, v7, vcc
	global_load_dwordx2 v[8:9], v[6:7], off
	v_mov_b32_e32 v6, 0
	v_cmp_lt_i64_e32 vcc, 0, v[4:5]
	v_mov_b32_e32 v7, 0xfff00000
	s_and_saveexec_b64 s[0:1], vcc
	s_cbranch_execz .LBB0_51
; %bb.50:
	v_lshlrev_b64 v[0:1], 1, v[0:1]
	v_mov_b32_e32 v4, s23
	v_subrev_co_u32_e32 v0, vcc, s22, v0
	v_subb_co_u32_e32 v1, vcc, v1, v4, vcc
	v_lshlrev_b64 v[0:1], 3, v[0:1]
	v_add_co_u32_e32 v0, vcc, v10, v0
	v_addc_co_u32_e32 v1, vcc, v11, v1, vcc
	global_load_dwordx2 v[6:7], v[0:1], off
.LBB0_51:
	s_or_b64 exec, exec, s[0:1]
	s_waitcnt vmcnt(0)
	v_cmp_gt_f64_e32 vcc, v[8:9], v[6:7]
	s_mov_b32 s0, 0
	v_cndmask_b32_e32 v1, v7, v9, vcc
	v_cndmask_b32_e32 v0, v6, v8, vcc
	s_mov_b32 s1, 0xfff00000
	v_cmp_neq_f64_e32 vcc, s[0:1], v[0:1]
	v_cndmask_b32_e32 v1, 0, v1, vcc
	v_cndmask_b32_e32 v0, 0, v0, vcc
	s_mov_b32 s8, 0x652b82fe
	v_add_f64 v[8:9], v[8:9], -v[0:1]
	s_mov_b32 s9, 0x3ff71547
	v_mul_f64 v[10:11], v[8:9], s[8:9]
	v_rndne_f64_e32 v[10:11], v[10:11]
	s_mov_b32 s5, 0xbfe62e42
	s_mov_b32 s4, 0xfefa39ef
	;; [unrolled: 1-line block ×3, first 2 shown]
	v_fma_f64 v[12:13], s[4:5], v[10:11], v[8:9]
	s_mov_b32 s7, 0xbc7abc9e
	s_mov_b32 s6, 0x3b39803f
	;; [unrolled: 1-line block ×4, first 2 shown]
	v_fmac_f64_e32 v[12:13], s[6:7], v[10:11]
	s_mov_b32 s11, 0x3e5ade15
	v_pk_mov_b32 v[14:15], s[0:1], s[0:1] op_sel:[0,1]
	s_mov_b32 s12, 0x623fde64
	v_fma_f64 v[16:17], s[10:11], v[12:13], v[14:15]
	s_mov_b32 s13, 0x3ec71dee
	s_mov_b32 s14, 0x7c89e6b0
	v_fma_f64 v[16:17], v[12:13], v[16:17], s[12:13]
	s_mov_b32 s15, 0x3efa0199
	;; [unrolled: 3-line block ×8, first 2 shown]
	v_fma_f64 v[16:17], v[12:13], v[16:17], s[30:31]
	v_fma_f64 v[16:17], v[12:13], v[16:17], 1.0
	s_mov_b32 s34, 0
	s_mov_b32 s36, 0
	v_fma_f64 v[12:13], v[12:13], v[16:17], 1.0
	v_cvt_i32_f64_e32 v5, v[10:11]
	s_mov_b32 s35, 0x40900000
	s_mov_b32 s37, 0xc090cc00
	v_ldexp_f64 v[10:11], v[12:13], v5
	v_mov_b32_e32 v5, 0x7ff00000
	v_cmp_nlt_f64_e32 vcc, s[34:35], v[8:9]
	v_cmp_ngt_f64_e64 s[0:1], s[36:37], v[8:9]
	v_cndmask_b32_e32 v11, v5, v11, vcc
	s_and_b64 vcc, s[0:1], vcc
	v_add_f64 v[6:7], v[6:7], -v[0:1]
	v_cndmask_b32_e64 v9, 0, v11, s[0:1]
	v_cndmask_b32_e32 v8, 0, v10, vcc
	v_mul_f64 v[10:11], v[6:7], s[8:9]
	v_rndne_f64_e32 v[10:11], v[10:11]
	v_fma_f64 v[12:13], s[4:5], v[10:11], v[6:7]
	v_fmac_f64_e32 v[12:13], s[6:7], v[10:11]
	v_fmac_f64_e32 v[14:15], s[10:11], v[12:13]
	v_fma_f64 v[14:15], v[12:13], v[14:15], s[12:13]
	v_fma_f64 v[14:15], v[12:13], v[14:15], s[14:15]
	;; [unrolled: 1-line block ×8, first 2 shown]
	v_fma_f64 v[14:15], v[12:13], v[14:15], 1.0
	v_fma_f64 v[12:13], v[12:13], v[14:15], 1.0
	v_cvt_i32_f64_e32 v10, v[10:11]
	v_ldexp_f64 v[10:11], v[12:13], v10
	v_cmp_nlt_f64_e32 vcc, s[34:35], v[6:7]
	v_cmp_ngt_f64_e64 s[0:1], s[36:37], v[6:7]
	v_cndmask_b32_e32 v5, v5, v11, vcc
	s_and_b64 vcc, s[0:1], vcc
	v_cndmask_b32_e64 v7, 0, v5, s[0:1]
	v_cndmask_b32_e32 v6, 0, v10, vcc
	v_add_f64 v[6:7], v[8:9], v[6:7]
	s_mov_b32 s0, 0x55555555
	v_frexp_mant_f64_e32 v[8:9], v[6:7]
	s_mov_b32 s1, 0x3fe55555
	v_mov_b32_e32 v5, 0x3ff00000
	v_cmp_gt_f64_e32 vcc, s[0:1], v[8:9]
	v_mov_b32_e32 v4, 0
	v_cndmask_b32_e64 v5, v5, 2.0, vcc
	v_mul_f64 v[4:5], v[8:9], v[4:5]
	v_frexp_exp_i32_f64_e32 v10, v[6:7]
	v_add_f64 v[8:9], v[4:5], 1.0
	v_subbrev_co_u32_e32 v20, vcc, 0, v10, vcc
	v_rcp_f64_e32 v[10:11], v[8:9]
	v_add_f64 v[14:15], v[8:9], -1.0
	v_add_f64 v[12:13], v[4:5], -1.0
	v_add_f64 v[4:5], v[4:5], -v[14:15]
	v_fma_f64 v[14:15], -v[8:9], v[10:11], 1.0
	v_fmac_f64_e32 v[10:11], v[14:15], v[10:11]
	v_fma_f64 v[14:15], -v[8:9], v[10:11], 1.0
	v_fmac_f64_e32 v[10:11], v[14:15], v[10:11]
	v_mul_f64 v[14:15], v[12:13], v[10:11]
	v_mul_f64 v[16:17], v[8:9], v[14:15]
	v_fma_f64 v[8:9], v[14:15], v[8:9], -v[16:17]
	v_fmac_f64_e32 v[8:9], v[14:15], v[4:5]
	v_add_f64 v[4:5], v[16:17], v[8:9]
	v_add_f64 v[18:19], v[12:13], -v[4:5]
	v_add_f64 v[16:17], v[4:5], -v[16:17]
	;; [unrolled: 1-line block ×5, first 2 shown]
	v_add_f64 v[4:5], v[8:9], v[4:5]
	v_add_f64 v[4:5], v[18:19], v[4:5]
	v_mul_f64 v[4:5], v[10:11], v[4:5]
	v_add_f64 v[8:9], v[14:15], v[4:5]
	v_add_f64 v[10:11], v[8:9], -v[14:15]
	s_mov_b32 s0, 0xbf559e2b
	v_add_f64 v[4:5], v[4:5], -v[10:11]
	v_mul_f64 v[10:11], v[8:9], v[8:9]
	v_mov_b32_e32 v12, 0x6b47b09a
	v_mov_b32_e32 v13, 0x3fc38538
	s_mov_b32 s1, 0x3fc3ab76
	v_fmac_f64_e32 v[12:13], s[0:1], v[10:11]
	v_mov_b32_e32 v14, 0xd7f4df2e
	v_mov_b32_e32 v15, 0x3fc7474d
	v_fmac_f64_e32 v[14:15], v[10:11], v[12:13]
	v_mov_b32_e32 v12, 0x16291751
	v_mov_b32_e32 v13, 0x3fcc71c0
	v_fmac_f64_e32 v[12:13], v[10:11], v[14:15]
	v_mov_b32_e32 v14, 0x9b27acf1
	v_mov_b32_e32 v15, 0x3fd24924
	v_fmac_f64_e32 v[14:15], v[10:11], v[12:13]
	v_mov_b32_e32 v12, 0x998ef7b6
	v_mov_b32_e32 v13, 0x3fd99999
	v_fmac_f64_e32 v[12:13], v[10:11], v[14:15]
	v_mov_b32_e32 v14, 0x55555780
	v_mov_b32_e32 v15, 0x3fe55555
	v_fmac_f64_e32 v[14:15], v[10:11], v[12:13]
	v_ldexp_f64 v[12:13], v[8:9], 1
	v_mul_f64 v[8:9], v[8:9], v[10:11]
	v_mul_f64 v[8:9], v[8:9], v[14:15]
	v_add_f64 v[10:11], v[12:13], v[8:9]
	v_add_f64 v[12:13], v[10:11], -v[12:13]
	v_ldexp_f64 v[4:5], v[4:5], 1
	v_add_f64 v[8:9], v[8:9], -v[12:13]
	v_add_f64 v[4:5], v[4:5], v[8:9]
	v_add_f64 v[8:9], v[10:11], v[4:5]
	v_add_f64 v[10:11], v[8:9], -v[10:11]
	v_add_f64 v[4:5], v[4:5], -v[10:11]
	v_cvt_f64_i32_e32 v[10:11], v20
	s_mov_b32 s5, 0x3fe62e42
	v_mul_f64 v[12:13], v[10:11], s[4:5]
	v_fma_f64 v[14:15], v[10:11], s[4:5], -v[12:13]
	s_mov_b32 s7, 0x3c7abc9e
	v_fmac_f64_e32 v[14:15], s[6:7], v[10:11]
	v_add_f64 v[10:11], v[12:13], v[14:15]
	v_add_f64 v[12:13], v[10:11], -v[12:13]
	v_add_f64 v[12:13], v[14:15], -v[12:13]
	v_add_f64 v[14:15], v[10:11], v[8:9]
	v_add_f64 v[16:17], v[14:15], -v[10:11]
	v_add_f64 v[18:19], v[14:15], -v[16:17]
	;; [unrolled: 1-line block ×4, first 2 shown]
	v_add_f64 v[8:9], v[8:9], v[10:11]
	v_add_f64 v[10:11], v[12:13], v[4:5]
	v_add_f64 v[16:17], v[10:11], -v[12:13]
	v_add_f64 v[18:19], v[10:11], -v[16:17]
	v_add_f64 v[8:9], v[10:11], v[8:9]
	v_add_f64 v[12:13], v[12:13], -v[18:19]
	v_add_f64 v[4:5], v[4:5], -v[16:17]
	v_add_f64 v[10:11], v[14:15], v[8:9]
	v_add_f64 v[4:5], v[4:5], v[12:13]
	v_add_f64 v[12:13], v[10:11], -v[14:15]
	v_add_f64 v[8:9], v[8:9], -v[12:13]
	v_add_f64 v[4:5], v[4:5], v[8:9]
	s_movk_i32 s0, 0x204
	v_add_f64 v[4:5], v[10:11], v[4:5]
	v_cmp_class_f64_e64 vcc, v[6:7], s0
	v_cndmask_b32_e32 v4, v4, v6, vcc
	v_cndmask_b32_e32 v5, v5, v7, vcc
	v_mov_b32_e32 v8, 0x7ff80000
	v_cmp_ngt_f64_e32 vcc, 0, v[6:7]
	v_cndmask_b32_e32 v5, v8, v5, vcc
	v_cmp_nge_f64_e32 vcc, 0, v[6:7]
	v_cndmask_b32_e32 v4, 0, v4, vcc
	v_mov_b32_e32 v8, 0xfff00000
	v_cmp_neq_f64_e32 vcc, 0, v[6:7]
	v_cndmask_b32_e32 v5, v8, v5, vcc
	v_add_f64 v[0:1], v[0:1], v[4:5]
	v_mov_b32_e32 v4, s19
	v_add_co_u32_e32 v2, vcc, s18, v2
	v_xor_b32_e32 v1, 0x80000000, v1
	v_addc_co_u32_e32 v3, vcc, v4, v3, vcc
	global_store_dwordx2 v[2:3], v[0:1], off
.LBB0_52:
	s_or_b64 exec, exec, s[2:3]
                                        ; implicit-def: $vgpr0
                                        ; implicit-def: $vgpr2_vgpr3
                                        ; implicit-def: $vgpr4_vgpr5
.LBB0_53:
	s_andn2_saveexec_b64 s[0:1], s[28:29]
	s_cbranch_execz .LBB0_56
; %bb.54:
	v_and_b32_e32 v0, 0x3ff, v0
	v_cmp_eq_u32_e32 vcc, 0, v0
	s_and_b64 exec, exec, vcc
	s_cbranch_execz .LBB0_56
; %bb.55:
	v_mov_b32_e32 v1, s19
	v_add_co_u32_e32 v0, vcc, s18, v2
	v_addc_co_u32_e32 v1, vcc, v1, v3, vcc
	v_mov_b32_e32 v2, 0x7ff00000
	v_bfrev_b32_e32 v3, 1
	s_waitcnt vmcnt(0)
	v_cmp_eq_u64_e32 vcc, 0, v[4:5]
	v_cndmask_b32_e32 v3, v2, v3, vcc
	v_mov_b32_e32 v2, 0
	global_store_dwordx2 v[0:1], v[2:3], off
.LBB0_56:
	s_endpgm
	.section	.rodata,"a",@progbits
	.p2align	6, 0x0
	.amdhsa_kernel _ZN2at6native12_GLOBAL__N_129ctc_loss_log_alpha_gpu_kernelIdlEEvPT_PKS3_PKllPKT0_S8_lS4_llllllS8_lll
		.amdhsa_group_segment_fixed_size 0
		.amdhsa_private_segment_fixed_size 0
		.amdhsa_kernarg_size 400
		.amdhsa_user_sgpr_count 6
		.amdhsa_user_sgpr_private_segment_buffer 1
		.amdhsa_user_sgpr_dispatch_ptr 0
		.amdhsa_user_sgpr_queue_ptr 0
		.amdhsa_user_sgpr_kernarg_segment_ptr 1
		.amdhsa_user_sgpr_dispatch_id 0
		.amdhsa_user_sgpr_flat_scratch_init 0
		.amdhsa_user_sgpr_kernarg_preload_length 0
		.amdhsa_user_sgpr_kernarg_preload_offset 0
		.amdhsa_user_sgpr_private_segment_size 0
		.amdhsa_uses_dynamic_stack 0
		.amdhsa_system_sgpr_private_segment_wavefront_offset 0
		.amdhsa_system_sgpr_workgroup_id_x 1
		.amdhsa_system_sgpr_workgroup_id_y 1
		.amdhsa_system_sgpr_workgroup_id_z 0
		.amdhsa_system_sgpr_workgroup_info 0
		.amdhsa_system_vgpr_workitem_id 1
		.amdhsa_next_free_vgpr 70
		.amdhsa_next_free_sgpr 93
		.amdhsa_accum_offset 72
		.amdhsa_reserve_vcc 1
		.amdhsa_reserve_flat_scratch 0
		.amdhsa_float_round_mode_32 0
		.amdhsa_float_round_mode_16_64 0
		.amdhsa_float_denorm_mode_32 3
		.amdhsa_float_denorm_mode_16_64 3
		.amdhsa_dx10_clamp 1
		.amdhsa_ieee_mode 1
		.amdhsa_fp16_overflow 0
		.amdhsa_tg_split 0
		.amdhsa_exception_fp_ieee_invalid_op 0
		.amdhsa_exception_fp_denorm_src 0
		.amdhsa_exception_fp_ieee_div_zero 0
		.amdhsa_exception_fp_ieee_overflow 0
		.amdhsa_exception_fp_ieee_underflow 0
		.amdhsa_exception_fp_ieee_inexact 0
		.amdhsa_exception_int_div_zero 0
	.end_amdhsa_kernel
	.section	.text._ZN2at6native12_GLOBAL__N_129ctc_loss_log_alpha_gpu_kernelIdlEEvPT_PKS3_PKllPKT0_S8_lS4_llllllS8_lll,"axG",@progbits,_ZN2at6native12_GLOBAL__N_129ctc_loss_log_alpha_gpu_kernelIdlEEvPT_PKS3_PKllPKT0_S8_lS4_llllllS8_lll,comdat
.Lfunc_end0:
	.size	_ZN2at6native12_GLOBAL__N_129ctc_loss_log_alpha_gpu_kernelIdlEEvPT_PKS3_PKllPKT0_S8_lS4_llllllS8_lll, .Lfunc_end0-_ZN2at6native12_GLOBAL__N_129ctc_loss_log_alpha_gpu_kernelIdlEEvPT_PKS3_PKllPKT0_S8_lS4_llllllS8_lll
                                        ; -- End function
	.section	.AMDGPU.csdata,"",@progbits
; Kernel info:
; codeLenInByte = 5500
; NumSgprs: 97
; NumVgprs: 70
; NumAgprs: 0
; TotalNumVgprs: 70
; ScratchSize: 0
; MemoryBound: 0
; FloatMode: 240
; IeeeMode: 1
; LDSByteSize: 0 bytes/workgroup (compile time only)
; SGPRBlocks: 12
; VGPRBlocks: 8
; NumSGPRsForWavesPerEU: 97
; NumVGPRsForWavesPerEU: 70
; AccumOffset: 72
; Occupancy: 7
; WaveLimiterHint : 1
; COMPUTE_PGM_RSRC2:SCRATCH_EN: 0
; COMPUTE_PGM_RSRC2:USER_SGPR: 6
; COMPUTE_PGM_RSRC2:TRAP_HANDLER: 0
; COMPUTE_PGM_RSRC2:TGID_X_EN: 1
; COMPUTE_PGM_RSRC2:TGID_Y_EN: 1
; COMPUTE_PGM_RSRC2:TGID_Z_EN: 0
; COMPUTE_PGM_RSRC2:TIDIG_COMP_CNT: 1
; COMPUTE_PGM_RSRC3_GFX90A:ACCUM_OFFSET: 17
; COMPUTE_PGM_RSRC3_GFX90A:TG_SPLIT: 0
	.section	.text._ZN2at6native12_GLOBAL__N_129ctc_loss_log_alpha_gpu_kernelIdiEEvPT_PKS3_PKllPKT0_S8_lS4_llllllS8_lll,"axG",@progbits,_ZN2at6native12_GLOBAL__N_129ctc_loss_log_alpha_gpu_kernelIdiEEvPT_PKS3_PKllPKT0_S8_lS4_llllllS8_lll,comdat
	.globl	_ZN2at6native12_GLOBAL__N_129ctc_loss_log_alpha_gpu_kernelIdiEEvPT_PKS3_PKllPKT0_S8_lS4_llllllS8_lll ; -- Begin function _ZN2at6native12_GLOBAL__N_129ctc_loss_log_alpha_gpu_kernelIdiEEvPT_PKS3_PKllPKT0_S8_lS4_llllllS8_lll
	.p2align	8
	.type	_ZN2at6native12_GLOBAL__N_129ctc_loss_log_alpha_gpu_kernelIdiEEvPT_PKS3_PKllPKT0_S8_lS4_llllllS8_lll,@function
_ZN2at6native12_GLOBAL__N_129ctc_loss_log_alpha_gpu_kernelIdiEEvPT_PKS3_PKllPKT0_S8_lS4_llllllS8_lll: ; @_ZN2at6native12_GLOBAL__N_129ctc_loss_log_alpha_gpu_kernelIdiEEvPT_PKS3_PKllPKT0_S8_lS4_llllllS8_lll
; %bb.0:
	s_load_dword s0, s[4:5], 0x9c
	s_load_dwordx4 s[16:19], s[4:5], 0x78
	s_add_u32 s2, s4, 0x90
	s_addc_u32 s3, s5, 0
	v_bfe_u32 v1, v0, 10, 10
	s_waitcnt lgkmcnt(0)
	s_lshr_b32 s0, s0, 16
	s_mul_i32 s7, s7, s0
	v_add_u32_e32 v8, s7, v1
	v_mov_b32_e32 v9, 0
	v_cmp_gt_i64_e32 vcc, s[18:19], v[8:9]
	s_and_saveexec_b64 s[0:1], vcc
	s_cbranch_execz .LBB1_56
; %bb.1:
	s_load_dwordx2 s[0:1], s[4:5], 0x10
	s_load_dwordx2 s[6:7], s[4:5], 0x28
	;; [unrolled: 1-line block ×3, first 2 shown]
	v_lshlrev_b64 v[2:3], 3, v[8:9]
	s_waitcnt lgkmcnt(0)
	v_mov_b32_e32 v1, s1
	v_add_co_u32_e32 v4, vcc, s0, v2
	v_addc_co_u32_e32 v5, vcc, v1, v3, vcc
	global_load_dwordx2 v[6:7], v[4:5], off
	v_mov_b32_e32 v1, s7
	v_add_co_u32_e32 v4, vcc, s6, v2
	v_addc_co_u32_e32 v5, vcc, v1, v3, vcc
	global_load_dwordx2 v[4:5], v[4:5], off
	s_waitcnt vmcnt(1)
	v_cmp_ne_u64_e32 vcc, 0, v[6:7]
	s_and_saveexec_b64 s[0:1], vcc
	s_xor_b64 s[28:29], exec, s[0:1]
	s_cbranch_execz .LBB1_53
; %bb.2:
	s_load_dwordx2 s[0:1], s[4:5], 0x70
	s_load_dwordx4 s[20:23], s[4:5], 0x60
	s_waitcnt lgkmcnt(0)
	v_mov_b32_e32 v1, s1
	v_add_co_u32_e32 v10, vcc, s0, v2
	v_addc_co_u32_e32 v11, vcc, v1, v3, vcc
	global_load_dwordx2 v[10:11], v[10:11], off
	s_load_dwordx4 s[24:27], s[4:5], 0x0
	s_load_dwordx2 s[6:7], s[4:5], 0x20
	s_load_dwordx8 s[8:15], s[4:5], 0x40
	s_load_dwordx2 s[30:31], s[4:5], 0x88
	s_load_dwordx2 s[36:37], s[4:5], 0x30
	s_mov_b64 s[0:1], -1
	s_waitcnt lgkmcnt(0)
	v_mad_u64_u32 v[12:13], s[34:35], v8, s10, 0
	v_mad_u64_u32 v[14:15], s[34:35], v8, s14, 0
	v_mov_b32_e32 v16, v13
	v_mov_b32_e32 v18, v15
	v_mad_u64_u32 v[16:17], s[10:11], v8, s11, v[16:17]
	v_mad_u64_u32 v[8:9], s[10:11], v8, s15, v[18:19]
	s_lshl_b64 s[34:35], s[36:37], 1
	v_cmp_gt_i64_e64 s[36:37], s[36:37], -1
	v_mov_b32_e32 v13, v16
	v_mov_b32_e32 v15, v8
	s_and_b64 vcc, exec, s[36:37]
	v_lshlrev_b64 v[16:17], 3, v[12:13]
	v_lshlrev_b64 v[8:9], 3, v[14:15]
	s_waitcnt vmcnt(0)
	v_lshlrev_b64 v[12:13], 2, v[10:11]
	s_cbranch_vccz .LBB1_17
; %bb.3:
	s_load_dword s14, s[2:3], 0xc
	v_and_b32_e32 v10, 0x3ff, v0
	v_mov_b32_e32 v1, s7
	v_add_co_u32_e32 v14, vcc, s6, v12
	s_waitcnt lgkmcnt(0)
	s_and_b32 s33, s14, 0xffff
	v_mad_u64_u32 v[18:19], s[14:15], s22, v10, 0
	v_mov_b32_e32 v20, v19
	v_addc_co_u32_e32 v15, vcc, v1, v13, vcc
	v_mad_u64_u32 v[20:21], s[14:15], s23, v10, v[20:21]
	v_mov_b32_e32 v11, s27
	v_add_co_u32_e32 v1, vcc, s26, v16
	v_mov_b32_e32 v19, v20
	v_addc_co_u32_e32 v11, vcc, v11, v17, vcc
	v_lshlrev_b64 v[18:19], 3, v[18:19]
	v_add_co_u32_e32 v18, vcc, v18, v8
	v_addc_co_u32_e32 v19, vcc, v19, v9, vcc
	s_mul_i32 s14, s23, s33
	s_mul_hi_u32 s15, s22, s33
	v_mov_b32_e32 v20, s25
	v_add_co_u32_e32 v18, vcc, s24, v18
	s_add_i32 s15, s15, s14
	s_mul_i32 s14, s22, s33
	s_mov_b64 s[10:11], 0
	v_cmp_ne_u64_e64 s[0:1], 0, v[4:5]
	v_addc_co_u32_e32 v19, vcc, v20, v19, vcc
	s_lshl_b64 s[14:15], s[14:15], 3
	s_branch .LBB1_5
.LBB1_4:                                ;   in Loop: Header=BB1_5 Depth=1
	s_or_b64 exec, exec, s[38:39]
	s_add_u32 s10, s10, s33
	v_mov_b32_e32 v20, s15
	v_add_co_u32_e32 v18, vcc, s14, v18
	s_addc_u32 s11, s11, 0
	v_addc_co_u32_e32 v19, vcc, v19, v20, vcc
	v_pk_mov_b32 v[20:21], s[34:35], s[34:35] op_sel:[0,1]
	v_cmp_gt_i64_e32 vcc, s[10:11], v[20:21]
	s_cbranch_vccnz .LBB1_18
.LBB1_5:                                ; =>This Inner Loop Header: Depth=1
	v_mov_b32_e32 v21, s11
	v_add_co_u32_e32 v20, vcc, s10, v10
	v_addc_co_u32_e32 v21, vcc, 0, v21, vcc
	v_cmp_lt_i64_e32 vcc, 0, v[20:21]
	s_mov_b64 s[40:41], 0
                                        ; implicit-def: $vgpr22_vgpr23
                                        ; implicit-def: $sgpr42_sgpr43
	s_and_saveexec_b64 s[38:39], vcc
	s_xor_b64 s[38:39], exec, s[38:39]
	s_cbranch_execz .LBB1_13
; %bb.6:                                ;   in Loop: Header=BB1_5 Depth=1
	v_cmp_eq_u64_e32 vcc, 1, v[20:21]
	s_mov_b64 s[44:45], 0
                                        ; implicit-def: $vgpr22_vgpr23
	s_and_saveexec_b64 s[40:41], vcc
	s_cbranch_execz .LBB1_10
; %bb.7:                                ;   in Loop: Header=BB1_5 Depth=1
	s_mov_b64 s[42:43], 0
                                        ; implicit-def: $vgpr22_vgpr23
	s_and_saveexec_b64 s[44:45], s[0:1]
	s_xor_b64 s[44:45], exec, s[44:45]
	s_cbranch_execz .LBB1_9
; %bb.8:                                ;   in Loop: Header=BB1_5 Depth=1
	global_load_dword v22, v[14:15], off
	s_mov_b64 s[42:43], exec
	s_waitcnt vmcnt(0)
	v_ashrrev_i32_e32 v23, 31, v22
.LBB1_9:                                ;   in Loop: Header=BB1_5 Depth=1
	s_or_b64 exec, exec, s[44:45]
	s_and_b64 s[44:45], s[42:43], exec
.LBB1_10:                               ;   in Loop: Header=BB1_5 Depth=1
	s_or_b64 exec, exec, s[40:41]
	s_mov_b32 s42, 0
	s_mov_b32 s43, 0xfff00000
	s_and_b64 s[40:41], s[44:45], exec
	s_or_saveexec_b64 s[38:39], s[38:39]
	s_waitcnt vmcnt(0)
	v_pk_mov_b32 v[24:25], s[42:43], s[42:43] op_sel:[0,1]
	s_xor_b64 exec, exec, s[38:39]
	s_cbranch_execnz .LBB1_14
.LBB1_11:                               ;   in Loop: Header=BB1_5 Depth=1
	s_or_b64 exec, exec, s[38:39]
	s_and_saveexec_b64 s[38:39], s[40:41]
	s_cbranch_execz .LBB1_15
.LBB1_12:                               ;   in Loop: Header=BB1_5 Depth=1
	v_mul_lo_u32 v24, v23, s12
	v_mul_lo_u32 v25, v22, s13
	v_mad_u64_u32 v[22:23], s[40:41], v22, s12, 0
	v_add3_u32 v23, v23, v25, v24
	v_lshlrev_b64 v[22:23], 3, v[22:23]
	v_add_co_u32_e32 v22, vcc, v1, v22
	v_addc_co_u32_e32 v23, vcc, v11, v23, vcc
	global_load_dwordx2 v[24:25], v[22:23], off
	s_or_b64 exec, exec, s[38:39]
	v_cmp_ge_i64_e32 vcc, s[34:35], v[20:21]
	s_and_saveexec_b64 s[38:39], vcc
	s_cbranch_execz .LBB1_4
	s_branch .LBB1_16
.LBB1_13:                               ;   in Loop: Header=BB1_5 Depth=1
	s_or_saveexec_b64 s[38:39], s[38:39]
	s_waitcnt vmcnt(0)
	v_pk_mov_b32 v[24:25], s[42:43], s[42:43] op_sel:[0,1]
	s_xor_b64 exec, exec, s[38:39]
	s_cbranch_execz .LBB1_11
.LBB1_14:                               ;   in Loop: Header=BB1_5 Depth=1
	v_cmp_eq_u64_e32 vcc, 0, v[20:21]
	v_mov_b32_e32 v24, 0
	s_andn2_b64 s[40:41], s[40:41], exec
	s_and_b64 s[42:43], vcc, exec
	v_pk_mov_b32 v[22:23], s[30:31], s[30:31] op_sel:[0,1]
	v_mov_b32_e32 v25, 0xfff00000
	s_or_b64 s[40:41], s[40:41], s[42:43]
	s_or_b64 exec, exec, s[38:39]
	s_and_saveexec_b64 s[38:39], s[40:41]
	s_cbranch_execnz .LBB1_12
.LBB1_15:                               ;   in Loop: Header=BB1_5 Depth=1
	s_or_b64 exec, exec, s[38:39]
	v_cmp_ge_i64_e32 vcc, s[34:35], v[20:21]
	s_and_saveexec_b64 s[38:39], vcc
	s_cbranch_execz .LBB1_4
.LBB1_16:                               ;   in Loop: Header=BB1_5 Depth=1
	s_waitcnt vmcnt(0)
	global_store_dwordx2 v[18:19], v[24:25], off
	s_branch .LBB1_4
.LBB1_17:
                                        ; implicit-def: $vgpr10
	s_and_b64 vcc, exec, s[0:1]
	s_cbranch_vccnz .LBB1_19
	s_branch .LBB1_20
.LBB1_18:
	s_branch .LBB1_20
.LBB1_19:
	v_and_b32_e32 v10, 0x3ff, v0
.LBB1_20:
	s_andn2_b64 vcc, exec, s[36:37]
	v_cmp_lt_i64_e64 s[0:1], 0, v[4:5]
	s_cbranch_vccnz .LBB1_48
; %bb.21:
	v_add_co_u32_e32 v11, vcc, s6, v12
	s_load_dwordx2 s[10:11], s[4:5], 0x18
	s_load_dword s6, s[2:3], 0xc
	v_mad_u64_u32 v[14:15], s[2:3], s22, v10, 0
	v_mov_b32_e32 v18, v15
	v_mad_u64_u32 v[18:19], s[2:3], s23, v10, v[18:19]
	s_waitcnt lgkmcnt(0)
	s_and_b32 s33, s6, 0xffff
	s_lshl_b64 s[38:39], s[20:21], 3
	v_mov_b32_e32 v0, s7
	v_mov_b32_e32 v15, v18
	s_add_u32 s2, s24, s38
	v_addc_co_u32_e32 v54, vcc, v0, v13, vcc
	v_lshlrev_b64 v[18:19], 3, v[14:15]
	s_addc_u32 s3, s25, s39
	v_mov_b32_e32 v1, s3
	v_add_co_u32_e32 v14, vcc, s2, v18
	s_mul_i32 s2, s23, s33
	s_mul_hi_u32 s3, s22, s33
	s_add_i32 s3, s3, s2
	s_mul_i32 s2, s22, s33
	s_lshl_b64 s[40:41], s[2:3], 3
	s_lshl_b64 s[8:9], s[8:9], 3
	s_add_u32 s2, s26, s8
	v_addc_co_u32_e32 v15, vcc, v1, v19, vcc
	s_addc_u32 s3, s27, s9
	v_mov_b32_e32 v1, s3
	v_add_co_u32_e32 v16, vcc, s2, v16
	v_addc_co_u32_e32 v17, vcc, v1, v17, vcc
	v_mov_b32_e32 v1, s25
	v_add_co_u32_e32 v18, vcc, s24, v18
	v_addc_co_u32_e32 v19, vcc, v1, v19, vcc
	v_add_co_u32_e32 v1, vcc, -2, v10
	v_addc_co_u32_e64 v20, s[2:3], 0, -1, vcc
	v_mul_lo_u32 v22, s23, v1
	v_mul_lo_u32 v23, s22, v20
	v_mad_u64_u32 v[20:21], s[2:3], s22, v1, 0
	v_add3_u32 v21, v21, v23, v22
	v_lshlrev_b64 v[20:21], 3, v[20:21]
	v_mov_b32_e32 v1, s25
	v_add_co_u32_e32 v20, vcc, s24, v20
	v_addc_co_u32_e32 v21, vcc, v1, v21, vcc
	v_add_co_u32_e32 v1, vcc, -1, v10
	v_addc_co_u32_e64 v22, s[2:3], 0, -1, vcc
	s_waitcnt vmcnt(0)
	v_mul_lo_u32 v24, s23, v1
	v_mul_lo_u32 v25, s22, v22
	v_mad_u64_u32 v[22:23], s[2:3], s22, v1, 0
	v_add3_u32 v23, v23, v25, v24
	v_lshlrev_b64 v[22:23], 3, v[22:23]
	v_mov_b32_e32 v1, s25
	v_add_co_u32_e32 v22, vcc, s24, v22
	s_mov_b32 s26, 0
	s_mov_b32 s42, 0x652b82fe
	;; [unrolled: 1-line block ×18, first 2 shown]
	v_mov_b32_e32 v0, 0
	v_lshlrev_b64 v[12:13], 1, v[4:5]
	s_mov_b64 s[14:15], 0
	v_cmp_gt_i64_e64 s[36:37], s[10:11], 1
	s_lshl_b64 s[12:13], s[12:13], 3
	v_addc_co_u32_e32 v23, vcc, v1, v23, vcc
	s_mov_b32 s27, 0xfff00000
	s_mov_b32 s43, 0x3ff71547
	;; [unrolled: 1-line block ×20, first 2 shown]
	s_movk_i32 s92, 0x204
	v_mov_b32_e32 v55, 0x7ff00000
	v_mov_b32_e32 v24, 0x6b47b09a
	;; [unrolled: 1-line block ×15, first 2 shown]
	s_branch .LBB1_23
.LBB1_22:                               ;   in Loop: Header=BB1_23 Depth=1
	v_mov_b32_e32 v1, s41
	v_add_co_u32_e32 v14, vcc, s40, v14
	v_addc_co_u32_e32 v15, vcc, v15, v1, vcc
	v_add_co_u32_e32 v18, vcc, s40, v18
	v_addc_co_u32_e32 v19, vcc, v19, v1, vcc
	v_add_co_u32_e32 v20, vcc, s40, v20
	v_addc_co_u32_e32 v21, vcc, v21, v1, vcc
	s_add_u32 s14, s14, s33
	v_add_co_u32_e32 v22, vcc, s40, v22
	s_addc_u32 s15, s15, 0
	v_addc_co_u32_e32 v23, vcc, v23, v1, vcc
	v_pk_mov_b32 v[36:37], s[34:35], s[34:35] op_sel:[0,1]
	v_cmp_gt_i64_e32 vcc, s[14:15], v[36:37]
	s_cbranch_vccnz .LBB1_48
.LBB1_23:                               ; =>This Loop Header: Depth=1
                                        ;     Child Loop BB1_34 Depth 2
	v_mov_b32_e32 v1, s15
	v_add_co_u32_e32 v36, vcc, s14, v10
	v_addc_co_u32_e32 v37, vcc, 0, v1, vcc
	v_cmp_le_i64_e64 s[4:5], v[36:37], v[12:13]
	s_and_b64 s[2:3], s[0:1], s[4:5]
	v_pk_mov_b32 v[38:39], s[30:31], s[30:31] op_sel:[0,1]
	s_mov_b64 s[80:81], 0
	s_and_saveexec_b64 s[6:7], s[2:3]
	s_cbranch_execz .LBB1_31
; %bb.24:                               ;   in Loop: Header=BB1_23 Depth=1
	v_and_b32_e32 v1, 1, v36
	v_cmp_eq_u32_e32 vcc, 1, v1
	v_pk_mov_b32 v[38:39], s[30:31], s[30:31] op_sel:[0,1]
	s_and_saveexec_b64 s[80:81], vcc
	s_cbranch_execz .LBB1_26
; %bb.25:                               ;   in Loop: Header=BB1_23 Depth=1
	v_alignbit_b32 v1, v37, v36, 1
	v_mul_lo_u32 v40, v1, s17
	v_mad_u64_u32 v[38:39], s[2:3], v1, s16, 0
	v_lshrrev_b32_e32 v1, 1, v37
	v_mul_lo_u32 v1, v1, s16
	v_add3_u32 v39, v39, v40, v1
	v_lshlrev_b64 v[38:39], 2, v[38:39]
	v_add_co_u32_e64 v38, s[2:3], v11, v38
	v_addc_co_u32_e64 v39, s[2:3], v54, v39, s[2:3]
	global_load_dword v38, v[38:39], off
	s_waitcnt vmcnt(0)
	v_ashrrev_i32_e32 v39, 31, v38
.LBB1_26:                               ;   in Loop: Header=BB1_23 Depth=1
	s_or_b64 exec, exec, s[80:81]
	v_cmp_lt_u64_e64 s[2:3], 1, v[36:37]
	s_mov_b64 s[82:83], 0
	s_and_saveexec_b64 s[80:81], s[2:3]
	s_cbranch_execz .LBB1_30
; %bb.27:                               ;   in Loop: Header=BB1_23 Depth=1
	v_pk_mov_b32 v[40:41], s[30:31], s[30:31] op_sel:[0,1]
	s_and_saveexec_b64 s[2:3], vcc
	s_cbranch_execz .LBB1_29
; %bb.28:                               ;   in Loop: Header=BB1_23 Depth=1
	v_add_co_u32_e32 v1, vcc, -2, v36
	v_addc_co_u32_e32 v41, vcc, -1, v37, vcc
	v_lshrrev_b32_e32 v40, 31, v41
	v_add_co_u32_e32 v40, vcc, v1, v40
	v_addc_co_u32_e32 v41, vcc, 0, v41, vcc
	v_ashrrev_i64 v[40:41], 1, v[40:41]
	v_mul_lo_u32 v1, v41, s16
	v_mul_lo_u32 v42, v40, s17
	v_mad_u64_u32 v[40:41], s[82:83], v40, s16, 0
	v_add3_u32 v41, v41, v42, v1
	v_lshlrev_b64 v[40:41], 2, v[40:41]
	v_add_co_u32_e32 v40, vcc, v11, v40
	v_addc_co_u32_e32 v41, vcc, v54, v41, vcc
	global_load_dword v40, v[40:41], off
	s_waitcnt vmcnt(0)
	v_ashrrev_i32_e32 v41, 31, v40
.LBB1_29:                               ;   in Loop: Header=BB1_23 Depth=1
	s_or_b64 exec, exec, s[2:3]
	v_cmp_ne_u64_e32 vcc, v[40:41], v[38:39]
	s_and_b64 s[82:83], vcc, exec
.LBB1_30:                               ;   in Loop: Header=BB1_23 Depth=1
	s_or_b64 exec, exec, s[80:81]
	s_and_b64 s[80:81], s[82:83], exec
.LBB1_31:                               ;   in Loop: Header=BB1_23 Depth=1
	s_or_b64 exec, exec, s[6:7]
	s_andn2_b64 vcc, exec, s[36:37]
	s_cbranch_vccnz .LBB1_22
; %bb.32:                               ;   in Loop: Header=BB1_23 Depth=1
	v_cmp_ge_i64_e32 vcc, s[34:35], v[36:37]
	v_cmp_ne_u64_e64 s[2:3], 0, v[36:37]
	v_mad_u64_u32 v[36:37], s[6:7], s12, v38, v[16:17]
	v_mul_lo_u32 v1, s12, v39
	v_mul_lo_u32 v38, s13, v38
	v_add3_u32 v37, v38, v37, v1
	s_mov_b64 s[82:83], 1
	s_xor_b64 s[84:85], s[4:5], -1
	v_pk_mov_b32 v[38:39], v[22:23], v[22:23] op_sel:[0,1]
	v_pk_mov_b32 v[40:41], v[20:21], v[20:21] op_sel:[0,1]
	;; [unrolled: 1-line block ×4, first 2 shown]
	s_branch .LBB1_34
.LBB1_33:                               ;   in Loop: Header=BB1_34 Depth=2
	s_or_b64 exec, exec, s[6:7]
	v_mov_b32_e32 v1, s39
	v_add_co_u32_e64 v44, s[4:5], s38, v44
	v_addc_co_u32_e64 v45, s[4:5], v45, v1, s[4:5]
	v_mov_b32_e32 v46, s9
	v_add_co_u32_e64 v36, s[4:5], s8, v36
	v_addc_co_u32_e64 v37, s[4:5], v37, v46, s[4:5]
	v_add_co_u32_e64 v42, s[4:5], s38, v42
	v_addc_co_u32_e64 v43, s[4:5], v43, v1, s[4:5]
	v_add_co_u32_e64 v40, s[4:5], s38, v40
	s_add_u32 s82, s82, 1
	v_addc_co_u32_e64 v41, s[4:5], v41, v1, s[4:5]
	s_addc_u32 s83, s83, 0
	v_add_co_u32_e64 v38, s[4:5], s38, v38
	s_cmp_eq_u64 s[10:11], s[82:83]
	v_addc_co_u32_e64 v39, s[4:5], v39, v1, s[4:5]
	s_cbranch_scc1 .LBB1_22
.LBB1_34:                               ;   Parent Loop BB1_23 Depth=1
                                        ; =>  This Inner Loop Header: Depth=2
	v_cmp_ge_i64_e64 s[4:5], s[82:83], v[6:7]
	s_or_b64 s[6:7], s[84:85], s[4:5]
	s_mov_b64 s[86:87], 0
	s_barrier
	s_waitcnt lgkmcnt(0)
                                        ; implicit-def: $sgpr4_sgpr5
	s_and_saveexec_b64 s[88:89], s[6:7]
	s_xor_b64 s[6:7], exec, s[88:89]
	s_cbranch_execz .LBB1_37
; %bb.35:                               ;   in Loop: Header=BB1_34 Depth=2
	s_mov_b32 s4, 0
	s_mov_b32 s5, 0xfff00000
	s_and_b64 s[86:87], vcc, exec
	s_or_saveexec_b64 s[88:89], s[6:7]
	v_pk_mov_b32 v[46:47], s[4:5], s[4:5] op_sel:[0,1]
	s_xor_b64 exec, exec, s[88:89]
	s_cbranch_execnz .LBB1_38
.LBB1_36:                               ;   in Loop: Header=BB1_34 Depth=2
	s_or_b64 exec, exec, s[88:89]
	s_and_saveexec_b64 s[6:7], s[86:87]
	s_cbranch_execz .LBB1_33
	s_branch .LBB1_47
.LBB1_37:                               ;   in Loop: Header=BB1_34 Depth=2
	s_or_saveexec_b64 s[88:89], s[6:7]
	v_pk_mov_b32 v[46:47], s[4:5], s[4:5] op_sel:[0,1]
	s_xor_b64 exec, exec, s[88:89]
	s_cbranch_execz .LBB1_36
.LBB1_38:                               ;   in Loop: Header=BB1_34 Depth=2
	v_add_co_u32_e64 v46, s[4:5], v42, v8
	v_addc_co_u32_e64 v47, s[4:5], v43, v9, s[4:5]
	global_load_dwordx2 v[52:53], v[46:47], off
	v_mov_b32_e32 v48, 0
	v_mov_b32_e32 v49, 0xfff00000
	v_pk_mov_b32 v[50:51], v[48:49], v[48:49] op_sel:[0,1]
	s_waitcnt vmcnt(0)
	v_pk_mov_b32 v[46:47], v[52:53], v[52:53] op_sel:[0,1]
	s_and_saveexec_b64 s[6:7], s[2:3]
	s_cbranch_execz .LBB1_42
; %bb.39:                               ;   in Loop: Header=BB1_34 Depth=2
	v_add_co_u32_e64 v46, s[4:5], v38, v8
	v_addc_co_u32_e64 v47, s[4:5], v39, v9, s[4:5]
	global_load_dwordx2 v[50:51], v[46:47], off
	v_pk_mov_b32 v[46:47], v[52:53], v[52:53] op_sel:[0,1]
	s_waitcnt vmcnt(0)
	v_cmp_gt_f64_e64 s[4:5], v[50:51], v[52:53]
	s_and_saveexec_b64 s[90:91], s[4:5]
; %bb.40:                               ;   in Loop: Header=BB1_34 Depth=2
	v_pk_mov_b32 v[46:47], v[50:51], v[50:51] op_sel:[0,1]
; %bb.41:                               ;   in Loop: Header=BB1_34 Depth=2
	s_or_b64 exec, exec, s[90:91]
.LBB1_42:                               ;   in Loop: Header=BB1_34 Depth=2
	s_or_b64 exec, exec, s[6:7]
	s_and_saveexec_b64 s[6:7], s[80:81]
	s_cbranch_execz .LBB1_46
; %bb.43:                               ;   in Loop: Header=BB1_34 Depth=2
	v_add_co_u32_e64 v48, s[4:5], v40, v8
	v_addc_co_u32_e64 v49, s[4:5], v41, v9, s[4:5]
	global_load_dwordx2 v[48:49], v[48:49], off
	s_waitcnt vmcnt(0)
	v_cmp_gt_f64_e64 s[4:5], v[48:49], v[46:47]
	s_and_saveexec_b64 s[90:91], s[4:5]
; %bb.44:                               ;   in Loop: Header=BB1_34 Depth=2
	v_pk_mov_b32 v[46:47], v[48:49], v[48:49] op_sel:[0,1]
; %bb.45:                               ;   in Loop: Header=BB1_34 Depth=2
	s_or_b64 exec, exec, s[90:91]
.LBB1_46:                               ;   in Loop: Header=BB1_34 Depth=2
	s_or_b64 exec, exec, s[6:7]
	v_cmp_neq_f64_e64 s[4:5], s[26:27], v[46:47]
	v_cndmask_b32_e64 v47, 0, v47, s[4:5]
	v_cndmask_b32_e64 v46, 0, v46, s[4:5]
	v_add_f64 v[52:53], v[52:53], -v[46:47]
	v_mul_f64 v[58:59], v[52:53], s[42:43]
	v_rndne_f64_e32 v[58:59], v[58:59]
	v_fma_f64 v[60:61], s[44:45], v[58:59], v[52:53]
	v_fmac_f64_e32 v[60:61], s[46:47], v[58:59]
	v_pk_mov_b32 v[62:63], s[48:49], s[48:49] op_sel:[0,1]
	v_fma_f64 v[64:65], s[50:51], v[60:61], v[62:63]
	v_fma_f64 v[64:65], v[60:61], v[64:65], s[52:53]
	;; [unrolled: 1-line block ×9, first 2 shown]
	v_fma_f64 v[64:65], v[60:61], v[64:65], 1.0
	v_fma_f64 v[60:61], v[60:61], v[64:65], 1.0
	v_cvt_i32_f64_e32 v1, v[58:59]
	v_ldexp_f64 v[58:59], v[60:61], v1
	v_cmp_nlt_f64_e64 s[4:5], s[68:69], v[52:53]
	v_cmp_ngt_f64_e64 s[6:7], s[70:71], v[52:53]
	v_cndmask_b32_e64 v1, v55, v59, s[4:5]
	s_and_b64 s[4:5], s[6:7], s[4:5]
	v_add_f64 v[50:51], v[50:51], -v[46:47]
	v_cndmask_b32_e64 v52, 0, v58, s[4:5]
	v_mul_f64 v[58:59], v[50:51], s[42:43]
	v_rndne_f64_e32 v[58:59], v[58:59]
	v_fma_f64 v[60:61], s[44:45], v[58:59], v[50:51]
	v_fmac_f64_e32 v[60:61], s[46:47], v[58:59]
	v_fma_f64 v[64:65], s[50:51], v[60:61], v[62:63]
	v_fma_f64 v[64:65], v[60:61], v[64:65], s[52:53]
	;; [unrolled: 1-line block ×9, first 2 shown]
	v_fma_f64 v[64:65], v[60:61], v[64:65], 1.0
	v_cndmask_b32_e64 v53, 0, v1, s[6:7]
	v_fma_f64 v[60:61], v[60:61], v[64:65], 1.0
	v_cvt_i32_f64_e32 v1, v[58:59]
	v_ldexp_f64 v[58:59], v[60:61], v1
	v_cmp_nlt_f64_e64 s[4:5], s[68:69], v[50:51]
	v_cmp_ngt_f64_e64 s[6:7], s[70:71], v[50:51]
	v_cndmask_b32_e64 v1, v55, v59, s[4:5]
	s_and_b64 s[4:5], s[6:7], s[4:5]
	v_cndmask_b32_e64 v51, 0, v1, s[6:7]
	v_cndmask_b32_e64 v50, 0, v58, s[4:5]
	v_add_f64 v[48:49], v[48:49], -v[46:47]
	v_add_f64 v[50:51], v[52:53], v[50:51]
	v_mul_f64 v[52:53], v[48:49], s[42:43]
	v_rndne_f64_e32 v[52:53], v[52:53]
	v_fma_f64 v[58:59], s[44:45], v[52:53], v[48:49]
	v_fmac_f64_e32 v[58:59], s[46:47], v[52:53]
	v_fmac_f64_e32 v[62:63], s[50:51], v[58:59]
	v_fma_f64 v[60:61], v[58:59], v[62:63], s[52:53]
	v_fma_f64 v[60:61], v[58:59], v[60:61], s[54:55]
	;; [unrolled: 1-line block ×8, first 2 shown]
	v_fma_f64 v[60:61], v[58:59], v[60:61], 1.0
	v_fma_f64 v[58:59], v[58:59], v[60:61], 1.0
	v_cvt_i32_f64_e32 v1, v[52:53]
	v_ldexp_f64 v[52:53], v[58:59], v1
	v_cmp_nlt_f64_e64 s[4:5], s[68:69], v[48:49]
	v_cmp_ngt_f64_e64 s[6:7], s[70:71], v[48:49]
	v_cndmask_b32_e64 v1, v55, v53, s[4:5]
	s_and_b64 s[4:5], s[6:7], s[4:5]
	v_cndmask_b32_e64 v49, 0, v1, s[6:7]
	v_cndmask_b32_e64 v48, 0, v52, s[4:5]
	v_add_f64 v[48:49], v[48:49], v[50:51]
	v_frexp_mant_f64_e32 v[50:51], v[48:49]
	v_mov_b32_e32 v1, 0x3ff00000
	v_cmp_gt_f64_e64 s[4:5], s[72:73], v[50:51]
	v_cndmask_b32_e64 v1, v1, 2.0, s[4:5]
	v_frexp_exp_i32_f64_e32 v52, v[48:49]
	v_mul_f64 v[50:51], v[50:51], v[0:1]
	v_subbrev_co_u32_e64 v1, s[4:5], 0, v52, s[4:5]
	v_add_f64 v[52:53], v[50:51], 1.0
	v_rcp_f64_e32 v[58:59], v[52:53]
	v_add_f64 v[62:63], v[52:53], -1.0
	v_add_f64 v[60:61], v[50:51], -1.0
	v_add_f64 v[50:51], v[50:51], -v[62:63]
	v_fma_f64 v[62:63], -v[52:53], v[58:59], 1.0
	v_fmac_f64_e32 v[58:59], v[62:63], v[58:59]
	global_load_dwordx2 v[62:63], v[36:37], off
	v_fma_f64 v[64:65], -v[52:53], v[58:59], 1.0
	v_fmac_f64_e32 v[58:59], v[64:65], v[58:59]
	v_mul_f64 v[64:65], v[60:61], v[58:59]
	v_mul_f64 v[66:67], v[52:53], v[64:65]
	v_fma_f64 v[52:53], v[64:65], v[52:53], -v[66:67]
	v_fmac_f64_e32 v[52:53], v[64:65], v[50:51]
	v_add_f64 v[50:51], v[66:67], v[52:53]
	v_add_f64 v[68:69], v[60:61], -v[50:51]
	v_add_f64 v[66:67], v[50:51], -v[66:67]
	;; [unrolled: 1-line block ×5, first 2 shown]
	v_add_f64 v[50:51], v[52:53], v[50:51]
	v_add_f64 v[50:51], v[68:69], v[50:51]
	v_mul_f64 v[50:51], v[58:59], v[50:51]
	v_add_f64 v[52:53], v[64:65], v[50:51]
	v_add_f64 v[58:59], v[52:53], -v[64:65]
	v_add_f64 v[50:51], v[50:51], -v[58:59]
	v_mul_f64 v[58:59], v[52:53], v[52:53]
	v_pk_mov_b32 v[60:61], v[24:25], v[24:25] op_sel:[0,1]
	v_fmac_f64_e32 v[60:61], s[74:75], v[58:59]
	v_pk_mov_b32 v[64:65], v[26:27], v[26:27] op_sel:[0,1]
	v_fmac_f64_e32 v[64:65], v[58:59], v[60:61]
	;; [unrolled: 2-line block ×6, first 2 shown]
	v_ldexp_f64 v[60:61], v[52:53], 1
	v_mul_f64 v[52:53], v[52:53], v[58:59]
	v_mul_f64 v[52:53], v[52:53], v[64:65]
	v_add_f64 v[58:59], v[60:61], v[52:53]
	v_add_f64 v[60:61], v[58:59], -v[60:61]
	v_ldexp_f64 v[50:51], v[50:51], 1
	v_add_f64 v[52:53], v[52:53], -v[60:61]
	v_add_f64 v[50:51], v[50:51], v[52:53]
	v_add_f64 v[52:53], v[58:59], v[50:51]
	v_add_f64 v[58:59], v[52:53], -v[58:59]
	v_add_f64 v[50:51], v[50:51], -v[58:59]
	v_cvt_f64_i32_e32 v[58:59], v1
	s_mov_b32 s76, s44
	v_mul_f64 v[60:61], v[58:59], s[76:77]
	v_fma_f64 v[64:65], v[58:59], s[76:77], -v[60:61]
	s_mov_b32 s78, s46
	v_fmac_f64_e32 v[64:65], s[78:79], v[58:59]
	v_add_f64 v[58:59], v[60:61], v[64:65]
	v_add_f64 v[60:61], v[58:59], -v[60:61]
	v_add_f64 v[60:61], v[64:65], -v[60:61]
	v_add_f64 v[64:65], v[58:59], v[52:53]
	v_add_f64 v[66:67], v[64:65], -v[58:59]
	v_add_f64 v[68:69], v[64:65], -v[66:67]
	;; [unrolled: 1-line block ×4, first 2 shown]
	v_add_f64 v[52:53], v[52:53], v[58:59]
	v_add_f64 v[58:59], v[60:61], v[50:51]
	v_add_f64 v[66:67], v[58:59], -v[60:61]
	v_add_f64 v[68:69], v[58:59], -v[66:67]
	v_add_f64 v[52:53], v[58:59], v[52:53]
	v_add_f64 v[60:61], v[60:61], -v[68:69]
	v_add_f64 v[50:51], v[50:51], -v[66:67]
	v_add_f64 v[58:59], v[64:65], v[52:53]
	v_add_f64 v[50:51], v[50:51], v[60:61]
	v_add_f64 v[60:61], v[58:59], -v[64:65]
	v_add_f64 v[52:53], v[52:53], -v[60:61]
	v_add_f64 v[50:51], v[50:51], v[52:53]
	v_add_f64 v[50:51], v[58:59], v[50:51]
	v_cmp_class_f64_e64 s[4:5], v[48:49], s92
	v_cndmask_b32_e64 v1, v50, v48, s[4:5]
	v_cndmask_b32_e64 v50, v51, v49, s[4:5]
	v_cmp_ngt_f64_e64 s[4:5], 0, v[48:49]
	v_cndmask_b32_e64 v51, v56, v50, s[4:5]
	v_cmp_nge_f64_e64 s[4:5], 0, v[48:49]
	v_cndmask_b32_e64 v50, 0, v1, s[4:5]
	v_cmp_neq_f64_e64 s[4:5], 0, v[48:49]
	v_cndmask_b32_e64 v51, v57, v51, s[4:5]
	v_add_f64 v[46:47], v[46:47], v[50:51]
	s_waitcnt vmcnt(0)
	v_add_f64 v[46:47], v[62:63], v[46:47]
	s_or_b64 s[86:87], s[86:87], exec
	s_or_b64 exec, exec, s[88:89]
	s_and_saveexec_b64 s[6:7], s[86:87]
	s_cbranch_execz .LBB1_33
.LBB1_47:                               ;   in Loop: Header=BB1_34 Depth=2
	v_add_co_u32_e64 v48, s[4:5], v44, v8
	v_addc_co_u32_e64 v49, s[4:5], v45, v9, s[4:5]
	global_store_dwordx2 v[48:49], v[46:47], off
	s_branch .LBB1_33
.LBB1_48:
	v_cmp_eq_u32_e32 vcc, 0, v10
	s_barrier
	s_and_saveexec_b64 s[2:3], vcc
	s_cbranch_execz .LBB1_52
; %bb.49:
	v_add_co_u32_e32 v0, vcc, -1, v6
	v_addc_co_u32_e32 v1, vcc, -1, v7, vcc
	v_mul_lo_u32 v1, v1, s20
	v_mul_lo_u32 v10, v0, s21
	v_mad_u64_u32 v[6:7], s[0:1], v0, s20, 0
	v_add3_u32 v7, v7, v10, v1
	v_mul_lo_u32 v10, v5, s22
	v_mul_lo_u32 v11, v4, s23
	v_mad_u64_u32 v[0:1], s[0:1], v4, s22, 0
	v_add3_u32 v1, v1, v11, v10
	v_mov_b32_e32 v10, s25
	v_add_co_u32_e32 v8, vcc, s24, v8
	v_addc_co_u32_e32 v9, vcc, v10, v9, vcc
	v_lshlrev_b64 v[6:7], 3, v[6:7]
	v_add_co_u32_e32 v10, vcc, v8, v6
	v_addc_co_u32_e32 v11, vcc, v9, v7, vcc
	v_lshlrev_b64 v[6:7], 4, v[0:1]
	v_add_co_u32_e32 v6, vcc, v10, v6
	v_addc_co_u32_e32 v7, vcc, v11, v7, vcc
	global_load_dwordx2 v[8:9], v[6:7], off
	v_mov_b32_e32 v6, 0
	v_cmp_lt_i64_e32 vcc, 0, v[4:5]
	v_mov_b32_e32 v7, 0xfff00000
	s_and_saveexec_b64 s[0:1], vcc
	s_cbranch_execz .LBB1_51
; %bb.50:
	v_lshlrev_b64 v[0:1], 1, v[0:1]
	v_mov_b32_e32 v4, s23
	v_subrev_co_u32_e32 v0, vcc, s22, v0
	v_subb_co_u32_e32 v1, vcc, v1, v4, vcc
	v_lshlrev_b64 v[0:1], 3, v[0:1]
	v_add_co_u32_e32 v0, vcc, v10, v0
	v_addc_co_u32_e32 v1, vcc, v11, v1, vcc
	global_load_dwordx2 v[6:7], v[0:1], off
.LBB1_51:
	s_or_b64 exec, exec, s[0:1]
	s_waitcnt vmcnt(0)
	v_cmp_gt_f64_e32 vcc, v[8:9], v[6:7]
	s_mov_b32 s0, 0
	v_cndmask_b32_e32 v1, v7, v9, vcc
	v_cndmask_b32_e32 v0, v6, v8, vcc
	s_mov_b32 s1, 0xfff00000
	v_cmp_neq_f64_e32 vcc, s[0:1], v[0:1]
	v_cndmask_b32_e32 v1, 0, v1, vcc
	v_cndmask_b32_e32 v0, 0, v0, vcc
	s_mov_b32 s8, 0x652b82fe
	v_add_f64 v[8:9], v[8:9], -v[0:1]
	s_mov_b32 s9, 0x3ff71547
	v_mul_f64 v[10:11], v[8:9], s[8:9]
	v_rndne_f64_e32 v[10:11], v[10:11]
	s_mov_b32 s5, 0xbfe62e42
	s_mov_b32 s4, 0xfefa39ef
	;; [unrolled: 1-line block ×3, first 2 shown]
	v_fma_f64 v[12:13], s[4:5], v[10:11], v[8:9]
	s_mov_b32 s7, 0xbc7abc9e
	s_mov_b32 s6, 0x3b39803f
	;; [unrolled: 1-line block ×4, first 2 shown]
	v_fmac_f64_e32 v[12:13], s[6:7], v[10:11]
	s_mov_b32 s11, 0x3e5ade15
	v_pk_mov_b32 v[14:15], s[0:1], s[0:1] op_sel:[0,1]
	s_mov_b32 s12, 0x623fde64
	v_fma_f64 v[16:17], s[10:11], v[12:13], v[14:15]
	s_mov_b32 s13, 0x3ec71dee
	s_mov_b32 s14, 0x7c89e6b0
	v_fma_f64 v[16:17], v[12:13], v[16:17], s[12:13]
	s_mov_b32 s15, 0x3efa0199
	;; [unrolled: 3-line block ×8, first 2 shown]
	v_fma_f64 v[16:17], v[12:13], v[16:17], s[30:31]
	v_fma_f64 v[16:17], v[12:13], v[16:17], 1.0
	s_mov_b32 s34, 0
	s_mov_b32 s36, 0
	v_fma_f64 v[12:13], v[12:13], v[16:17], 1.0
	v_cvt_i32_f64_e32 v5, v[10:11]
	s_mov_b32 s35, 0x40900000
	s_mov_b32 s37, 0xc090cc00
	v_ldexp_f64 v[10:11], v[12:13], v5
	v_mov_b32_e32 v5, 0x7ff00000
	v_cmp_nlt_f64_e32 vcc, s[34:35], v[8:9]
	v_cmp_ngt_f64_e64 s[0:1], s[36:37], v[8:9]
	v_cndmask_b32_e32 v11, v5, v11, vcc
	s_and_b64 vcc, s[0:1], vcc
	v_add_f64 v[6:7], v[6:7], -v[0:1]
	v_cndmask_b32_e64 v9, 0, v11, s[0:1]
	v_cndmask_b32_e32 v8, 0, v10, vcc
	v_mul_f64 v[10:11], v[6:7], s[8:9]
	v_rndne_f64_e32 v[10:11], v[10:11]
	v_fma_f64 v[12:13], s[4:5], v[10:11], v[6:7]
	v_fmac_f64_e32 v[12:13], s[6:7], v[10:11]
	v_fmac_f64_e32 v[14:15], s[10:11], v[12:13]
	v_fma_f64 v[14:15], v[12:13], v[14:15], s[12:13]
	v_fma_f64 v[14:15], v[12:13], v[14:15], s[14:15]
	;; [unrolled: 1-line block ×8, first 2 shown]
	v_fma_f64 v[14:15], v[12:13], v[14:15], 1.0
	v_fma_f64 v[12:13], v[12:13], v[14:15], 1.0
	v_cvt_i32_f64_e32 v10, v[10:11]
	v_ldexp_f64 v[10:11], v[12:13], v10
	v_cmp_nlt_f64_e32 vcc, s[34:35], v[6:7]
	v_cmp_ngt_f64_e64 s[0:1], s[36:37], v[6:7]
	v_cndmask_b32_e32 v5, v5, v11, vcc
	s_and_b64 vcc, s[0:1], vcc
	v_cndmask_b32_e64 v7, 0, v5, s[0:1]
	v_cndmask_b32_e32 v6, 0, v10, vcc
	v_add_f64 v[6:7], v[8:9], v[6:7]
	s_mov_b32 s0, 0x55555555
	v_frexp_mant_f64_e32 v[8:9], v[6:7]
	s_mov_b32 s1, 0x3fe55555
	v_mov_b32_e32 v5, 0x3ff00000
	v_cmp_gt_f64_e32 vcc, s[0:1], v[8:9]
	v_mov_b32_e32 v4, 0
	v_cndmask_b32_e64 v5, v5, 2.0, vcc
	v_mul_f64 v[4:5], v[8:9], v[4:5]
	v_frexp_exp_i32_f64_e32 v10, v[6:7]
	v_add_f64 v[8:9], v[4:5], 1.0
	v_subbrev_co_u32_e32 v20, vcc, 0, v10, vcc
	v_rcp_f64_e32 v[10:11], v[8:9]
	v_add_f64 v[14:15], v[8:9], -1.0
	v_add_f64 v[12:13], v[4:5], -1.0
	v_add_f64 v[4:5], v[4:5], -v[14:15]
	v_fma_f64 v[14:15], -v[8:9], v[10:11], 1.0
	v_fmac_f64_e32 v[10:11], v[14:15], v[10:11]
	v_fma_f64 v[14:15], -v[8:9], v[10:11], 1.0
	v_fmac_f64_e32 v[10:11], v[14:15], v[10:11]
	v_mul_f64 v[14:15], v[12:13], v[10:11]
	v_mul_f64 v[16:17], v[8:9], v[14:15]
	v_fma_f64 v[8:9], v[14:15], v[8:9], -v[16:17]
	v_fmac_f64_e32 v[8:9], v[14:15], v[4:5]
	v_add_f64 v[4:5], v[16:17], v[8:9]
	v_add_f64 v[18:19], v[12:13], -v[4:5]
	v_add_f64 v[16:17], v[4:5], -v[16:17]
	v_add_f64 v[12:13], v[12:13], -v[18:19]
	v_add_f64 v[4:5], v[12:13], -v[4:5]
	v_add_f64 v[8:9], v[16:17], -v[8:9]
	v_add_f64 v[4:5], v[8:9], v[4:5]
	v_add_f64 v[4:5], v[18:19], v[4:5]
	v_mul_f64 v[4:5], v[10:11], v[4:5]
	v_add_f64 v[8:9], v[14:15], v[4:5]
	v_add_f64 v[10:11], v[8:9], -v[14:15]
	s_mov_b32 s0, 0xbf559e2b
	v_add_f64 v[4:5], v[4:5], -v[10:11]
	v_mul_f64 v[10:11], v[8:9], v[8:9]
	v_mov_b32_e32 v12, 0x6b47b09a
	v_mov_b32_e32 v13, 0x3fc38538
	s_mov_b32 s1, 0x3fc3ab76
	v_fmac_f64_e32 v[12:13], s[0:1], v[10:11]
	v_mov_b32_e32 v14, 0xd7f4df2e
	v_mov_b32_e32 v15, 0x3fc7474d
	v_fmac_f64_e32 v[14:15], v[10:11], v[12:13]
	v_mov_b32_e32 v12, 0x16291751
	v_mov_b32_e32 v13, 0x3fcc71c0
	;; [unrolled: 3-line block ×5, first 2 shown]
	v_fmac_f64_e32 v[14:15], v[10:11], v[12:13]
	v_ldexp_f64 v[12:13], v[8:9], 1
	v_mul_f64 v[8:9], v[8:9], v[10:11]
	v_mul_f64 v[8:9], v[8:9], v[14:15]
	v_add_f64 v[10:11], v[12:13], v[8:9]
	v_add_f64 v[12:13], v[10:11], -v[12:13]
	v_ldexp_f64 v[4:5], v[4:5], 1
	v_add_f64 v[8:9], v[8:9], -v[12:13]
	v_add_f64 v[4:5], v[4:5], v[8:9]
	v_add_f64 v[8:9], v[10:11], v[4:5]
	v_add_f64 v[10:11], v[8:9], -v[10:11]
	v_add_f64 v[4:5], v[4:5], -v[10:11]
	v_cvt_f64_i32_e32 v[10:11], v20
	s_mov_b32 s5, 0x3fe62e42
	v_mul_f64 v[12:13], v[10:11], s[4:5]
	v_fma_f64 v[14:15], v[10:11], s[4:5], -v[12:13]
	s_mov_b32 s7, 0x3c7abc9e
	v_fmac_f64_e32 v[14:15], s[6:7], v[10:11]
	v_add_f64 v[10:11], v[12:13], v[14:15]
	v_add_f64 v[12:13], v[10:11], -v[12:13]
	v_add_f64 v[12:13], v[14:15], -v[12:13]
	v_add_f64 v[14:15], v[10:11], v[8:9]
	v_add_f64 v[16:17], v[14:15], -v[10:11]
	v_add_f64 v[18:19], v[14:15], -v[16:17]
	;; [unrolled: 1-line block ×4, first 2 shown]
	v_add_f64 v[8:9], v[8:9], v[10:11]
	v_add_f64 v[10:11], v[12:13], v[4:5]
	v_add_f64 v[16:17], v[10:11], -v[12:13]
	v_add_f64 v[18:19], v[10:11], -v[16:17]
	v_add_f64 v[8:9], v[10:11], v[8:9]
	v_add_f64 v[12:13], v[12:13], -v[18:19]
	v_add_f64 v[4:5], v[4:5], -v[16:17]
	v_add_f64 v[10:11], v[14:15], v[8:9]
	v_add_f64 v[4:5], v[4:5], v[12:13]
	v_add_f64 v[12:13], v[10:11], -v[14:15]
	v_add_f64 v[8:9], v[8:9], -v[12:13]
	v_add_f64 v[4:5], v[4:5], v[8:9]
	s_movk_i32 s0, 0x204
	v_add_f64 v[4:5], v[10:11], v[4:5]
	v_cmp_class_f64_e64 vcc, v[6:7], s0
	v_cndmask_b32_e32 v4, v4, v6, vcc
	v_cndmask_b32_e32 v5, v5, v7, vcc
	v_mov_b32_e32 v8, 0x7ff80000
	v_cmp_ngt_f64_e32 vcc, 0, v[6:7]
	v_cndmask_b32_e32 v5, v8, v5, vcc
	v_cmp_nge_f64_e32 vcc, 0, v[6:7]
	v_cndmask_b32_e32 v4, 0, v4, vcc
	v_mov_b32_e32 v8, 0xfff00000
	v_cmp_neq_f64_e32 vcc, 0, v[6:7]
	v_cndmask_b32_e32 v5, v8, v5, vcc
	v_add_f64 v[0:1], v[0:1], v[4:5]
	v_mov_b32_e32 v4, s19
	v_add_co_u32_e32 v2, vcc, s18, v2
	v_xor_b32_e32 v1, 0x80000000, v1
	v_addc_co_u32_e32 v3, vcc, v4, v3, vcc
	global_store_dwordx2 v[2:3], v[0:1], off
.LBB1_52:
	s_or_b64 exec, exec, s[2:3]
                                        ; implicit-def: $vgpr0
                                        ; implicit-def: $vgpr2_vgpr3
                                        ; implicit-def: $vgpr4_vgpr5
.LBB1_53:
	s_andn2_saveexec_b64 s[0:1], s[28:29]
	s_cbranch_execz .LBB1_56
; %bb.54:
	v_and_b32_e32 v0, 0x3ff, v0
	v_cmp_eq_u32_e32 vcc, 0, v0
	s_and_b64 exec, exec, vcc
	s_cbranch_execz .LBB1_56
; %bb.55:
	v_mov_b32_e32 v1, s19
	v_add_co_u32_e32 v0, vcc, s18, v2
	v_addc_co_u32_e32 v1, vcc, v1, v3, vcc
	v_mov_b32_e32 v2, 0x7ff00000
	v_bfrev_b32_e32 v3, 1
	s_waitcnt vmcnt(0)
	v_cmp_eq_u64_e32 vcc, 0, v[4:5]
	v_cndmask_b32_e32 v3, v2, v3, vcc
	v_mov_b32_e32 v2, 0
	global_store_dwordx2 v[0:1], v[2:3], off
.LBB1_56:
	s_endpgm
	.section	.rodata,"a",@progbits
	.p2align	6, 0x0
	.amdhsa_kernel _ZN2at6native12_GLOBAL__N_129ctc_loss_log_alpha_gpu_kernelIdiEEvPT_PKS3_PKllPKT0_S8_lS4_llllllS8_lll
		.amdhsa_group_segment_fixed_size 0
		.amdhsa_private_segment_fixed_size 0
		.amdhsa_kernarg_size 400
		.amdhsa_user_sgpr_count 6
		.amdhsa_user_sgpr_private_segment_buffer 1
		.amdhsa_user_sgpr_dispatch_ptr 0
		.amdhsa_user_sgpr_queue_ptr 0
		.amdhsa_user_sgpr_kernarg_segment_ptr 1
		.amdhsa_user_sgpr_dispatch_id 0
		.amdhsa_user_sgpr_flat_scratch_init 0
		.amdhsa_user_sgpr_kernarg_preload_length 0
		.amdhsa_user_sgpr_kernarg_preload_offset 0
		.amdhsa_user_sgpr_private_segment_size 0
		.amdhsa_uses_dynamic_stack 0
		.amdhsa_system_sgpr_private_segment_wavefront_offset 0
		.amdhsa_system_sgpr_workgroup_id_x 1
		.amdhsa_system_sgpr_workgroup_id_y 1
		.amdhsa_system_sgpr_workgroup_id_z 0
		.amdhsa_system_sgpr_workgroup_info 0
		.amdhsa_system_vgpr_workitem_id 1
		.amdhsa_next_free_vgpr 70
		.amdhsa_next_free_sgpr 93
		.amdhsa_accum_offset 72
		.amdhsa_reserve_vcc 1
		.amdhsa_reserve_flat_scratch 0
		.amdhsa_float_round_mode_32 0
		.amdhsa_float_round_mode_16_64 0
		.amdhsa_float_denorm_mode_32 3
		.amdhsa_float_denorm_mode_16_64 3
		.amdhsa_dx10_clamp 1
		.amdhsa_ieee_mode 1
		.amdhsa_fp16_overflow 0
		.amdhsa_tg_split 0
		.amdhsa_exception_fp_ieee_invalid_op 0
		.amdhsa_exception_fp_denorm_src 0
		.amdhsa_exception_fp_ieee_div_zero 0
		.amdhsa_exception_fp_ieee_overflow 0
		.amdhsa_exception_fp_ieee_underflow 0
		.amdhsa_exception_fp_ieee_inexact 0
		.amdhsa_exception_int_div_zero 0
	.end_amdhsa_kernel
	.section	.text._ZN2at6native12_GLOBAL__N_129ctc_loss_log_alpha_gpu_kernelIdiEEvPT_PKS3_PKllPKT0_S8_lS4_llllllS8_lll,"axG",@progbits,_ZN2at6native12_GLOBAL__N_129ctc_loss_log_alpha_gpu_kernelIdiEEvPT_PKS3_PKllPKT0_S8_lS4_llllllS8_lll,comdat
.Lfunc_end1:
	.size	_ZN2at6native12_GLOBAL__N_129ctc_loss_log_alpha_gpu_kernelIdiEEvPT_PKS3_PKllPKT0_S8_lS4_llllllS8_lll, .Lfunc_end1-_ZN2at6native12_GLOBAL__N_129ctc_loss_log_alpha_gpu_kernelIdiEEvPT_PKS3_PKllPKT0_S8_lS4_llllllS8_lll
                                        ; -- End function
	.section	.AMDGPU.csdata,"",@progbits
; Kernel info:
; codeLenInByte = 5504
; NumSgprs: 97
; NumVgprs: 70
; NumAgprs: 0
; TotalNumVgprs: 70
; ScratchSize: 0
; MemoryBound: 0
; FloatMode: 240
; IeeeMode: 1
; LDSByteSize: 0 bytes/workgroup (compile time only)
; SGPRBlocks: 12
; VGPRBlocks: 8
; NumSGPRsForWavesPerEU: 97
; NumVGPRsForWavesPerEU: 70
; AccumOffset: 72
; Occupancy: 7
; WaveLimiterHint : 1
; COMPUTE_PGM_RSRC2:SCRATCH_EN: 0
; COMPUTE_PGM_RSRC2:USER_SGPR: 6
; COMPUTE_PGM_RSRC2:TRAP_HANDLER: 0
; COMPUTE_PGM_RSRC2:TGID_X_EN: 1
; COMPUTE_PGM_RSRC2:TGID_Y_EN: 1
; COMPUTE_PGM_RSRC2:TGID_Z_EN: 0
; COMPUTE_PGM_RSRC2:TIDIG_COMP_CNT: 1
; COMPUTE_PGM_RSRC3_GFX90A:ACCUM_OFFSET: 17
; COMPUTE_PGM_RSRC3_GFX90A:TG_SPLIT: 0
	.section	.text._ZN2at6native12_GLOBAL__N_129ctc_loss_log_alpha_gpu_kernelIflEEvPT_PKS3_PKllPKT0_S8_lS4_llllllS8_lll,"axG",@progbits,_ZN2at6native12_GLOBAL__N_129ctc_loss_log_alpha_gpu_kernelIflEEvPT_PKS3_PKllPKT0_S8_lS4_llllllS8_lll,comdat
	.globl	_ZN2at6native12_GLOBAL__N_129ctc_loss_log_alpha_gpu_kernelIflEEvPT_PKS3_PKllPKT0_S8_lS4_llllllS8_lll ; -- Begin function _ZN2at6native12_GLOBAL__N_129ctc_loss_log_alpha_gpu_kernelIflEEvPT_PKS3_PKllPKT0_S8_lS4_llllllS8_lll
	.p2align	8
	.type	_ZN2at6native12_GLOBAL__N_129ctc_loss_log_alpha_gpu_kernelIflEEvPT_PKS3_PKllPKT0_S8_lS4_llllllS8_lll,@function
_ZN2at6native12_GLOBAL__N_129ctc_loss_log_alpha_gpu_kernelIflEEvPT_PKS3_PKllPKT0_S8_lS4_llllllS8_lll: ; @_ZN2at6native12_GLOBAL__N_129ctc_loss_log_alpha_gpu_kernelIflEEvPT_PKS3_PKllPKT0_S8_lS4_llllllS8_lll
; %bb.0:
	s_load_dword s0, s[4:5], 0x9c
	s_load_dwordx4 s[16:19], s[4:5], 0x78
	s_add_u32 s2, s4, 0x90
	s_addc_u32 s3, s5, 0
	v_bfe_u32 v1, v0, 10, 10
	s_waitcnt lgkmcnt(0)
	s_lshr_b32 s0, s0, 16
	s_mul_i32 s7, s7, s0
	v_add_u32_e32 v2, s7, v1
	v_mov_b32_e32 v3, 0
	v_cmp_gt_i64_e32 vcc, s[18:19], v[2:3]
	s_and_saveexec_b64 s[0:1], vcc
	s_cbranch_execz .LBB2_56
; %bb.1:
	s_load_dwordx2 s[0:1], s[4:5], 0x10
	s_load_dwordx2 s[8:9], s[4:5], 0x28
	;; [unrolled: 1-line block ×3, first 2 shown]
	v_lshlrev_b64 v[8:9], 3, v[2:3]
	s_waitcnt lgkmcnt(0)
	v_mov_b32_e32 v1, s1
	v_add_co_u32_e32 v4, vcc, s0, v8
	v_addc_co_u32_e32 v5, vcc, v1, v9, vcc
	global_load_dwordx2 v[6:7], v[4:5], off
	v_mov_b32_e32 v1, s9
	v_add_co_u32_e32 v4, vcc, s8, v8
	v_addc_co_u32_e32 v5, vcc, v1, v9, vcc
	global_load_dwordx2 v[4:5], v[4:5], off
	s_waitcnt vmcnt(1)
	v_cmp_ne_u64_e32 vcc, 0, v[6:7]
	s_and_saveexec_b64 s[0:1], vcc
	s_xor_b64 s[18:19], exec, s[0:1]
	s_cbranch_execz .LBB2_53
; %bb.2:
	s_load_dwordx2 s[0:1], s[4:5], 0x70
	s_load_dwordx4 s[20:23], s[4:5], 0x60
	s_waitcnt lgkmcnt(0)
	v_mov_b32_e32 v1, s1
	v_add_co_u32_e32 v8, vcc, s0, v8
	v_addc_co_u32_e32 v9, vcc, v1, v9, vcc
	global_load_dwordx2 v[10:11], v[8:9], off
	s_load_dwordx4 s[24:27], s[4:5], 0x0
	s_load_dwordx2 s[34:35], s[4:5], 0x20
	s_load_dwordx8 s[8:15], s[4:5], 0x40
	s_load_dwordx2 s[28:29], s[4:5], 0x88
	s_load_dwordx2 s[36:37], s[4:5], 0x30
	s_mov_b64 s[0:1], -1
	s_waitcnt lgkmcnt(0)
	v_mad_u64_u32 v[8:9], s[30:31], v2, s10, 0
	v_mad_u64_u32 v[12:13], s[30:31], v2, s14, 0
	v_mov_b32_e32 v14, v9
	v_mov_b32_e32 v16, v13
	v_mad_u64_u32 v[14:15], s[10:11], v2, s11, v[14:15]
	v_mad_u64_u32 v[16:17], s[10:11], v2, s15, v[16:17]
	s_lshl_b64 s[30:31], s[36:37], 1
	v_cmp_gt_i64_e64 s[36:37], s[36:37], -1
	v_mov_b32_e32 v9, v14
	v_mov_b32_e32 v13, v16
	s_and_b64 vcc, exec, s[36:37]
	v_lshlrev_b64 v[14:15], 2, v[8:9]
	v_lshlrev_b64 v[8:9], 2, v[12:13]
	s_waitcnt vmcnt(0)
	v_lshlrev_b64 v[12:13], 3, v[10:11]
	s_cbranch_vccz .LBB2_17
; %bb.3:
	s_load_dword s14, s[2:3], 0xc
	v_and_b32_e32 v10, 0x3ff, v0
	v_mov_b32_e32 v1, s35
	v_add_co_u32_e32 v16, vcc, s34, v12
	s_waitcnt lgkmcnt(0)
	s_and_b32 s33, s14, 0xffff
	v_mad_u64_u32 v[18:19], s[14:15], s22, v10, 0
	v_mov_b32_e32 v20, v19
	v_addc_co_u32_e32 v17, vcc, v1, v13, vcc
	v_mad_u64_u32 v[20:21], s[14:15], s23, v10, v[20:21]
	v_mov_b32_e32 v11, s27
	v_add_co_u32_e32 v1, vcc, s26, v14
	v_mov_b32_e32 v19, v20
	v_addc_co_u32_e32 v11, vcc, v11, v15, vcc
	v_lshlrev_b64 v[18:19], 2, v[18:19]
	v_add_co_u32_e32 v18, vcc, v18, v8
	v_addc_co_u32_e32 v19, vcc, v19, v9, vcc
	s_mul_i32 s14, s23, s33
	s_mul_hi_u32 s15, s22, s33
	v_mov_b32_e32 v20, s25
	v_add_co_u32_e32 v18, vcc, s24, v18
	s_add_i32 s15, s15, s14
	s_mul_i32 s14, s22, s33
	s_mov_b64 s[10:11], 0
	v_cmp_ne_u64_e64 s[0:1], 0, v[4:5]
	v_addc_co_u32_e32 v19, vcc, v20, v19, vcc
	s_lshl_b64 s[14:15], s[14:15], 2
	s_branch .LBB2_5
.LBB2_4:                                ;   in Loop: Header=BB2_5 Depth=1
	s_or_b64 exec, exec, s[38:39]
	s_add_u32 s10, s10, s33
	v_mov_b32_e32 v20, s15
	v_add_co_u32_e32 v18, vcc, s14, v18
	s_addc_u32 s11, s11, 0
	v_addc_co_u32_e32 v19, vcc, v19, v20, vcc
	v_pk_mov_b32 v[20:21], s[30:31], s[30:31] op_sel:[0,1]
	v_cmp_gt_i64_e32 vcc, s[10:11], v[20:21]
	s_cbranch_vccnz .LBB2_18
.LBB2_5:                                ; =>This Inner Loop Header: Depth=1
	v_mov_b32_e32 v21, s11
	v_add_co_u32_e32 v20, vcc, s10, v10
	v_addc_co_u32_e32 v21, vcc, 0, v21, vcc
	v_cmp_lt_i64_e32 vcc, 0, v[20:21]
	s_mov_b64 s[40:41], 0
                                        ; implicit-def: $vgpr22_vgpr23
                                        ; implicit-def: $sgpr44
	s_and_saveexec_b64 s[38:39], vcc
	s_xor_b64 s[38:39], exec, s[38:39]
	s_cbranch_execz .LBB2_13
; %bb.6:                                ;   in Loop: Header=BB2_5 Depth=1
	v_cmp_eq_u64_e32 vcc, 1, v[20:21]
	s_mov_b64 s[42:43], 0
                                        ; implicit-def: $vgpr22_vgpr23
	s_and_saveexec_b64 s[40:41], vcc
	s_cbranch_execz .LBB2_10
; %bb.7:                                ;   in Loop: Header=BB2_5 Depth=1
                                        ; implicit-def: $vgpr22_vgpr23
	s_and_saveexec_b64 s[44:45], s[0:1]
	s_xor_b64 s[44:45], exec, s[44:45]
	s_cbranch_execz .LBB2_9
; %bb.8:                                ;   in Loop: Header=BB2_5 Depth=1
	global_load_dwordx2 v[22:23], v[16:17], off
	s_mov_b64 s[42:43], exec
.LBB2_9:                                ;   in Loop: Header=BB2_5 Depth=1
	s_or_b64 exec, exec, s[44:45]
	s_and_b64 s[42:43], s[42:43], exec
.LBB2_10:                               ;   in Loop: Header=BB2_5 Depth=1
	s_or_b64 exec, exec, s[40:41]
	s_mov_b32 s44, 0xff800000
	s_and_b64 s[40:41], s[42:43], exec
	s_or_saveexec_b64 s[38:39], s[38:39]
	s_waitcnt vmcnt(0)
	v_mov_b32_e32 v24, s44
	s_xor_b64 exec, exec, s[38:39]
	s_cbranch_execnz .LBB2_14
.LBB2_11:                               ;   in Loop: Header=BB2_5 Depth=1
	s_or_b64 exec, exec, s[38:39]
	s_and_saveexec_b64 s[38:39], s[40:41]
	s_cbranch_execz .LBB2_15
.LBB2_12:                               ;   in Loop: Header=BB2_5 Depth=1
	s_waitcnt vmcnt(0)
	v_mul_lo_u32 v24, v23, s12
	v_mul_lo_u32 v25, v22, s13
	v_mad_u64_u32 v[22:23], s[40:41], v22, s12, 0
	v_add3_u32 v23, v23, v25, v24
	v_lshlrev_b64 v[22:23], 2, v[22:23]
	v_add_co_u32_e32 v22, vcc, v1, v22
	v_addc_co_u32_e32 v23, vcc, v11, v23, vcc
	global_load_dword v24, v[22:23], off
	s_or_b64 exec, exec, s[38:39]
	v_cmp_ge_i64_e32 vcc, s[30:31], v[20:21]
	s_and_saveexec_b64 s[38:39], vcc
	s_cbranch_execz .LBB2_4
	s_branch .LBB2_16
.LBB2_13:                               ;   in Loop: Header=BB2_5 Depth=1
	s_or_saveexec_b64 s[38:39], s[38:39]
	s_waitcnt vmcnt(0)
	v_mov_b32_e32 v24, s44
	s_xor_b64 exec, exec, s[38:39]
	s_cbranch_execz .LBB2_11
.LBB2_14:                               ;   in Loop: Header=BB2_5 Depth=1
	v_cmp_eq_u64_e32 vcc, 0, v[20:21]
	s_andn2_b64 s[40:41], s[40:41], exec
	s_and_b64 s[42:43], vcc, exec
	s_waitcnt vmcnt(0)
	v_pk_mov_b32 v[22:23], s[28:29], s[28:29] op_sel:[0,1]
	v_mov_b32_e32 v24, 0xff800000
	s_or_b64 s[40:41], s[40:41], s[42:43]
	s_or_b64 exec, exec, s[38:39]
	s_and_saveexec_b64 s[38:39], s[40:41]
	s_cbranch_execnz .LBB2_12
.LBB2_15:                               ;   in Loop: Header=BB2_5 Depth=1
	s_or_b64 exec, exec, s[38:39]
	v_cmp_ge_i64_e32 vcc, s[30:31], v[20:21]
	s_and_saveexec_b64 s[38:39], vcc
	s_cbranch_execz .LBB2_4
.LBB2_16:                               ;   in Loop: Header=BB2_5 Depth=1
	s_waitcnt vmcnt(0)
	global_store_dword v[18:19], v24, off
	s_branch .LBB2_4
.LBB2_17:
                                        ; implicit-def: $vgpr10
	s_and_b64 vcc, exec, s[0:1]
	s_cbranch_vccnz .LBB2_19
	s_branch .LBB2_20
.LBB2_18:
	s_branch .LBB2_20
.LBB2_19:
	v_and_b32_e32 v10, 0x3ff, v0
.LBB2_20:
	s_andn2_b64 vcc, exec, s[36:37]
	v_cmp_lt_i64_e64 s[0:1], 0, v[4:5]
	s_cbranch_vccnz .LBB2_48
; %bb.21:
	s_load_dwordx2 s[10:11], s[4:5], 0x18
	s_load_dword s33, s[2:3], 0xc
	v_mov_b32_e32 v0, s35
	v_add_co_u32_e32 v11, vcc, s34, v12
	v_addc_co_u32_e32 v34, vcc, v0, v13, vcc
	v_mad_u64_u32 v[12:13], s[2:3], s22, v10, 0
	v_mov_b32_e32 v16, v13
	s_waitcnt lgkmcnt(0)
	s_and_b32 s33, s33, 0xffff
	v_mad_u64_u32 v[16:17], s[2:3], s23, v10, v[16:17]
	s_lshl_b64 s[36:37], s[20:21], 2
	v_mov_b32_e32 v13, v16
	s_add_u32 s2, s24, s36
	v_lshlrev_b64 v[16:17], 2, v[12:13]
	s_addc_u32 s3, s25, s37
	v_mov_b32_e32 v13, s3
	v_add_co_u32_e32 v12, vcc, s2, v16
	s_mul_i32 s2, s23, s33
	s_mul_hi_u32 s3, s22, s33
	s_add_i32 s3, s3, s2
	s_mul_i32 s2, s22, s33
	s_lshl_b64 s[38:39], s[2:3], 2
	s_lshl_b64 s[8:9], s[8:9], 2
	s_add_u32 s2, s26, s8
	v_addc_co_u32_e32 v13, vcc, v13, v17, vcc
	s_addc_u32 s3, s27, s9
	v_mov_b32_e32 v18, s3
	v_add_co_u32_e32 v14, vcc, s2, v14
	v_addc_co_u32_e32 v15, vcc, v18, v15, vcc
	v_mov_b32_e32 v18, s25
	v_add_co_u32_e32 v16, vcc, s24, v16
	v_addc_co_u32_e32 v17, vcc, v18, v17, vcc
	v_add_co_u32_e32 v18, vcc, -2, v10
	v_addc_co_u32_e64 v19, s[2:3], 0, -1, vcc
	v_mul_lo_u32 v20, s23, v18
	v_mul_lo_u32 v21, s22, v19
	v_mad_u64_u32 v[18:19], s[2:3], s22, v18, 0
	v_add3_u32 v19, v19, v21, v20
	v_lshlrev_b64 v[18:19], 2, v[18:19]
	v_mov_b32_e32 v20, s25
	v_add_co_u32_e32 v18, vcc, s24, v18
	v_addc_co_u32_e32 v19, vcc, v20, v19, vcc
	v_add_co_u32_e32 v20, vcc, -1, v10
	v_addc_co_u32_e64 v21, s[2:3], 0, -1, vcc
	s_waitcnt vmcnt(0)
	v_mul_lo_u32 v22, s23, v20
	v_mul_lo_u32 v23, s22, v21
	v_mad_u64_u32 v[20:21], s[2:3], s22, v20, 0
	v_add3_u32 v21, v21, v23, v22
	v_lshlrev_b64 v[20:21], 2, v[20:21]
	v_mov_b32_e32 v22, s25
	v_add_co_u32_e32 v20, vcc, s24, v20
	v_lshlrev_b64 v[0:1], 1, v[4:5]
	s_mov_b64 s[14:15], 0
	v_cmp_gt_i64_e64 s[34:35], s[10:11], 1
	s_lshl_b64 s[12:13], s[12:13], 2
	v_addc_co_u32_e32 v21, vcc, v22, v21, vcc
	s_mov_b32 s52, 0xff800000
	s_mov_b32 s53, 0x3fb8aa3b
	;; [unrolled: 1-line block ×7, first 2 shown]
	v_mov_b32_e32 v35, 0x7f800000
	v_mov_b32_e32 v36, 0x4f800000
	;; [unrolled: 1-line block ×3, first 2 shown]
	s_branch .LBB2_23
.LBB2_22:                               ;   in Loop: Header=BB2_23 Depth=1
	v_mov_b32_e32 v22, s39
	v_add_co_u32_e32 v12, vcc, s38, v12
	v_addc_co_u32_e32 v13, vcc, v13, v22, vcc
	v_add_co_u32_e32 v16, vcc, s38, v16
	v_addc_co_u32_e32 v17, vcc, v17, v22, vcc
	;; [unrolled: 2-line block ×3, first 2 shown]
	s_add_u32 s14, s14, s33
	v_add_co_u32_e32 v20, vcc, s38, v20
	s_addc_u32 s15, s15, 0
	v_addc_co_u32_e32 v21, vcc, v21, v22, vcc
	v_pk_mov_b32 v[22:23], s[30:31], s[30:31] op_sel:[0,1]
	v_cmp_gt_i64_e32 vcc, s[14:15], v[22:23]
	s_cbranch_vccnz .LBB2_48
.LBB2_23:                               ; =>This Loop Header: Depth=1
                                        ;     Child Loop BB2_34 Depth 2
	v_mov_b32_e32 v23, s15
	v_add_co_u32_e32 v22, vcc, s14, v10
	v_addc_co_u32_e32 v23, vcc, 0, v23, vcc
	v_cmp_le_i64_e64 s[4:5], v[22:23], v[0:1]
	s_and_b64 s[2:3], s[0:1], s[4:5]
	s_waitcnt vmcnt(0)
	v_pk_mov_b32 v[24:25], s[28:29], s[28:29] op_sel:[0,1]
	s_mov_b64 s[26:27], 0
	s_and_saveexec_b64 s[40:41], s[2:3]
	s_cbranch_execz .LBB2_31
; %bb.24:                               ;   in Loop: Header=BB2_23 Depth=1
	v_and_b32_e32 v24, 1, v22
	v_cmp_eq_u32_e32 vcc, 1, v24
	v_pk_mov_b32 v[24:25], s[28:29], s[28:29] op_sel:[0,1]
	s_and_saveexec_b64 s[26:27], vcc
	s_cbranch_execz .LBB2_26
; %bb.25:                               ;   in Loop: Header=BB2_23 Depth=1
	v_alignbit_b32 v24, v23, v22, 1
	v_lshrrev_b32_e32 v27, 1, v23
	v_mul_lo_u32 v26, v24, s17
	v_mad_u64_u32 v[24:25], s[2:3], v24, s16, 0
	v_mul_lo_u32 v27, v27, s16
	v_add3_u32 v25, v25, v26, v27
	v_lshlrev_b64 v[24:25], 3, v[24:25]
	v_add_co_u32_e64 v24, s[2:3], v11, v24
	v_addc_co_u32_e64 v25, s[2:3], v34, v25, s[2:3]
	global_load_dwordx2 v[24:25], v[24:25], off
.LBB2_26:                               ;   in Loop: Header=BB2_23 Depth=1
	s_or_b64 exec, exec, s[26:27]
	v_cmp_lt_u64_e64 s[2:3], 1, v[22:23]
	s_mov_b64 s[42:43], 0
	s_and_saveexec_b64 s[26:27], s[2:3]
	s_cbranch_execz .LBB2_30
; %bb.27:                               ;   in Loop: Header=BB2_23 Depth=1
	v_pk_mov_b32 v[26:27], s[28:29], s[28:29] op_sel:[0,1]
	s_and_saveexec_b64 s[2:3], vcc
	s_cbranch_execz .LBB2_29
; %bb.28:                               ;   in Loop: Header=BB2_23 Depth=1
	v_add_co_u32_e32 v26, vcc, -2, v22
	v_addc_co_u32_e32 v27, vcc, -1, v23, vcc
	v_lshrrev_b32_e32 v28, 31, v27
	v_add_co_u32_e32 v26, vcc, v26, v28
	v_addc_co_u32_e32 v27, vcc, 0, v27, vcc
	v_ashrrev_i64 v[26:27], 1, v[26:27]
	v_mul_lo_u32 v28, v27, s16
	v_mul_lo_u32 v29, v26, s17
	v_mad_u64_u32 v[26:27], s[42:43], v26, s16, 0
	v_add3_u32 v27, v27, v29, v28
	v_lshlrev_b64 v[26:27], 3, v[26:27]
	v_add_co_u32_e32 v26, vcc, v11, v26
	v_addc_co_u32_e32 v27, vcc, v34, v27, vcc
	global_load_dwordx2 v[26:27], v[26:27], off
.LBB2_29:                               ;   in Loop: Header=BB2_23 Depth=1
	s_or_b64 exec, exec, s[2:3]
	s_waitcnt vmcnt(0)
	v_cmp_ne_u64_e32 vcc, v[26:27], v[24:25]
	s_and_b64 s[42:43], vcc, exec
.LBB2_30:                               ;   in Loop: Header=BB2_23 Depth=1
	s_or_b64 exec, exec, s[26:27]
	s_and_b64 s[26:27], s[42:43], exec
.LBB2_31:                               ;   in Loop: Header=BB2_23 Depth=1
	s_or_b64 exec, exec, s[40:41]
	s_andn2_b64 vcc, exec, s[34:35]
	s_cbranch_vccnz .LBB2_22
; %bb.32:                               ;   in Loop: Header=BB2_23 Depth=1
	v_cmp_ge_i64_e32 vcc, s[30:31], v[22:23]
	v_cmp_ne_u64_e64 s[2:3], 0, v[22:23]
	s_waitcnt vmcnt(0)
	v_mad_u64_u32 v[22:23], s[40:41], s12, v24, v[14:15]
	v_mul_lo_u32 v25, s12, v25
	v_mul_lo_u32 v24, s13, v24
	v_add3_u32 v23, v24, v23, v25
	s_mov_b64 s[40:41], 1
	s_xor_b64 s[42:43], s[4:5], -1
	v_pk_mov_b32 v[24:25], v[20:21], v[20:21] op_sel:[0,1]
	v_pk_mov_b32 v[26:27], v[18:19], v[18:19] op_sel:[0,1]
	;; [unrolled: 1-line block ×4, first 2 shown]
	s_branch .LBB2_34
.LBB2_33:                               ;   in Loop: Header=BB2_34 Depth=2
	s_or_b64 exec, exec, s[46:47]
	v_mov_b32_e32 v32, s37
	v_add_co_u32_e64 v30, s[4:5], s36, v30
	v_addc_co_u32_e64 v31, s[4:5], v31, v32, s[4:5]
	v_mov_b32_e32 v33, s9
	v_add_co_u32_e64 v22, s[4:5], s8, v22
	v_addc_co_u32_e64 v23, s[4:5], v23, v33, s[4:5]
	v_add_co_u32_e64 v28, s[4:5], s36, v28
	v_addc_co_u32_e64 v29, s[4:5], v29, v32, s[4:5]
	v_add_co_u32_e64 v26, s[4:5], s36, v26
	s_add_u32 s40, s40, 1
	v_addc_co_u32_e64 v27, s[4:5], v27, v32, s[4:5]
	s_addc_u32 s41, s41, 0
	v_add_co_u32_e64 v24, s[4:5], s36, v24
	s_cmp_eq_u64 s[10:11], s[40:41]
	v_addc_co_u32_e64 v25, s[4:5], v25, v32, s[4:5]
	s_cbranch_scc1 .LBB2_22
.LBB2_34:                               ;   Parent Loop BB2_23 Depth=1
                                        ; =>  This Inner Loop Header: Depth=2
	v_cmp_ge_i64_e64 s[4:5], s[40:41], v[6:7]
	s_or_b64 s[4:5], s[42:43], s[4:5]
	s_mov_b64 s[44:45], 0
	s_barrier
	s_waitcnt lgkmcnt(0)
                                        ; implicit-def: $sgpr48
	s_and_saveexec_b64 s[46:47], s[4:5]
	s_xor_b64 s[4:5], exec, s[46:47]
	s_cbranch_execz .LBB2_37
; %bb.35:                               ;   in Loop: Header=BB2_34 Depth=2
	s_mov_b32 s48, 0xff800000
	s_and_b64 s[44:45], vcc, exec
	s_or_saveexec_b64 s[46:47], s[4:5]
	v_mov_b32_e32 v32, s48
	s_xor_b64 exec, exec, s[46:47]
	s_cbranch_execnz .LBB2_38
.LBB2_36:                               ;   in Loop: Header=BB2_34 Depth=2
	s_or_b64 exec, exec, s[46:47]
	s_and_saveexec_b64 s[46:47], s[44:45]
	s_cbranch_execz .LBB2_33
	s_branch .LBB2_47
.LBB2_37:                               ;   in Loop: Header=BB2_34 Depth=2
	s_or_saveexec_b64 s[46:47], s[4:5]
	v_mov_b32_e32 v32, s48
	s_xor_b64 exec, exec, s[46:47]
	s_cbranch_execz .LBB2_36
.LBB2_38:                               ;   in Loop: Header=BB2_34 Depth=2
	v_add_co_u32_e64 v32, s[4:5], v28, v8
	v_addc_co_u32_e64 v33, s[4:5], v29, v9, s[4:5]
	global_load_dword v32, v[32:33], off
	v_mov_b32_e32 v38, 0xff800000
	v_mov_b32_e32 v33, 0xff800000
	s_waitcnt vmcnt(0)
	v_mov_b32_e32 v39, v32
	s_and_saveexec_b64 s[48:49], s[2:3]
	s_cbranch_execz .LBB2_42
; %bb.39:                               ;   in Loop: Header=BB2_34 Depth=2
	v_add_co_u32_e64 v40, s[4:5], v24, v8
	v_addc_co_u32_e64 v41, s[4:5], v25, v9, s[4:5]
	global_load_dword v33, v[40:41], off
	v_mov_b32_e32 v39, v32
	s_waitcnt vmcnt(0)
	v_cmp_gt_f32_e64 s[4:5], v33, v32
	s_and_saveexec_b64 s[50:51], s[4:5]
; %bb.40:                               ;   in Loop: Header=BB2_34 Depth=2
	v_mov_b32_e32 v39, v33
; %bb.41:                               ;   in Loop: Header=BB2_34 Depth=2
	s_or_b64 exec, exec, s[50:51]
.LBB2_42:                               ;   in Loop: Header=BB2_34 Depth=2
	s_or_b64 exec, exec, s[48:49]
	s_and_saveexec_b64 s[48:49], s[26:27]
	s_cbranch_execz .LBB2_46
; %bb.43:                               ;   in Loop: Header=BB2_34 Depth=2
	v_add_co_u32_e64 v40, s[4:5], v26, v8
	v_addc_co_u32_e64 v41, s[4:5], v27, v9, s[4:5]
	global_load_dword v38, v[40:41], off
	s_waitcnt vmcnt(0)
	v_cmp_gt_f32_e64 s[4:5], v38, v39
	s_and_saveexec_b64 s[50:51], s[4:5]
; %bb.44:                               ;   in Loop: Header=BB2_34 Depth=2
	v_mov_b32_e32 v39, v38
; %bb.45:                               ;   in Loop: Header=BB2_34 Depth=2
	s_or_b64 exec, exec, s[50:51]
.LBB2_46:                               ;   in Loop: Header=BB2_34 Depth=2
	s_or_b64 exec, exec, s[48:49]
	global_load_dword v41, v[22:23], off
	v_cmp_neq_f32_e64 s[4:5], s52, v39
	v_cndmask_b32_e64 v40, 0, v39, s[4:5]
	v_sub_f32_e32 v38, v38, v40
	v_mul_f32_e32 v43, 0x3fb8aa3b, v38
	v_fma_f32 v48, v38, s53, -v43
	v_rndne_f32_e32 v49, v43
	v_fmac_f32_e32 v48, 0x32a5705f, v38
	v_sub_f32_e32 v43, v43, v49
	v_add_f32_e32 v43, v43, v48
	v_cvt_i32_f32_e32 v49, v49
	v_exp_f32_e32 v43, v43
	s_or_b64 s[44:45], s[44:45], exec
	v_ldexp_f32 v43, v43, v49
	s_waitcnt vmcnt(0)
	v_pk_add_f32 v[32:33], v[32:33], v[40:41] op_sel_hi:[1,0] neg_lo:[0,1] neg_hi:[0,1]
	v_mul_f32_e32 v39, 0x3fb8aa3b, v33
	v_mul_f32_e32 v42, 0x3fb8aa3b, v32
	v_fma_f32 v44, v33, s53, -v39
	v_rndne_f32_e32 v45, v39
	v_fma_f32 v46, v32, s53, -v42
	v_rndne_f32_e32 v47, v42
	v_fmac_f32_e32 v44, 0x32a5705f, v33
	v_sub_f32_e32 v39, v39, v45
	v_fmac_f32_e32 v46, 0x32a5705f, v32
	v_sub_f32_e32 v42, v42, v47
	v_add_f32_e32 v39, v39, v44
	v_cvt_i32_f32_e32 v45, v45
	v_add_f32_e32 v42, v42, v46
	v_exp_f32_e32 v39, v39
	v_cvt_i32_f32_e32 v47, v47
	v_exp_f32_e32 v42, v42
	v_cmp_ngt_f32_e64 s[4:5], s54, v33
	v_ldexp_f32 v39, v39, v45
	v_cndmask_b32_e64 v39, 0, v39, s[4:5]
	v_ldexp_f32 v42, v42, v47
	v_cmp_ngt_f32_e64 s[4:5], s54, v32
	v_cndmask_b32_e64 v42, 0, v42, s[4:5]
	v_cmp_ngt_f32_e64 s[4:5], s54, v38
	v_cndmask_b32_e64 v43, 0, v43, s[4:5]
	v_cmp_nlt_f32_e64 s[4:5], s55, v33
	v_cndmask_b32_e64 v33, v35, v39, s[4:5]
	v_cmp_nlt_f32_e64 s[4:5], s55, v32
	;; [unrolled: 2-line block ×3, first 2 shown]
	v_cndmask_b32_e64 v38, v35, v43, s[4:5]
	v_add_f32_e32 v32, v32, v33
	v_add_f32_e32 v32, v38, v32
	v_cmp_gt_f32_e64 s[4:5], s57, v32
	v_cndmask_b32_e64 v33, 1.0, v36, s[4:5]
	v_mul_f32_e32 v32, v32, v33
	v_log_f32_e32 v32, v32
	v_cndmask_b32_e64 v33, 0, v37, s[4:5]
	v_mul_f32_e32 v38, 0x3f317217, v32
	v_fma_f32 v39, v32, s58, -v38
	v_fmac_f32_e32 v39, 0x3377d1cf, v32
	v_add_f32_e32 v38, v38, v39
	v_cmp_lt_f32_e64 s[4:5], |v32|, s56
	v_cndmask_b32_e64 v32, v32, v38, s[4:5]
	v_sub_f32_e32 v32, v32, v33
	v_add_f32_e32 v32, v40, v32
	v_add_f32_e32 v32, v41, v32
	s_or_b64 exec, exec, s[46:47]
	s_and_saveexec_b64 s[46:47], s[44:45]
	s_cbranch_execz .LBB2_33
.LBB2_47:                               ;   in Loop: Header=BB2_34 Depth=2
	v_add_co_u32_e64 v38, s[4:5], v30, v8
	v_addc_co_u32_e64 v39, s[4:5], v31, v9, s[4:5]
	global_store_dword v[38:39], v32, off
	s_branch .LBB2_33
.LBB2_48:
	v_cmp_eq_u32_e32 vcc, 0, v10
	s_barrier
	s_and_saveexec_b64 s[2:3], vcc
	s_cbranch_execz .LBB2_52
; %bb.49:
	v_add_co_u32_e32 v0, vcc, -1, v6
	v_addc_co_u32_e32 v1, vcc, -1, v7, vcc
	v_mul_lo_u32 v6, v1, s20
	v_mul_lo_u32 v7, v0, s21
	v_mad_u64_u32 v[0:1], s[0:1], v0, s20, 0
	v_add3_u32 v1, v1, v7, v6
	v_mul_lo_u32 v10, v5, s22
	v_mul_lo_u32 v11, v4, s23
	v_mad_u64_u32 v[6:7], s[0:1], v4, s22, 0
	v_add3_u32 v7, v7, v11, v10
	v_mov_b32_e32 v10, s25
	v_add_co_u32_e32 v8, vcc, s24, v8
	v_addc_co_u32_e32 v9, vcc, v10, v9, vcc
	v_lshlrev_b64 v[0:1], 2, v[0:1]
	v_add_co_u32_e32 v8, vcc, v8, v0
	v_addc_co_u32_e32 v9, vcc, v9, v1, vcc
	v_lshlrev_b64 v[0:1], 3, v[6:7]
	v_add_co_u32_e32 v0, vcc, v8, v0
	v_addc_co_u32_e32 v1, vcc, v9, v1, vcc
	global_load_dword v0, v[0:1], off
	v_cmp_lt_i64_e32 vcc, 0, v[4:5]
	v_mov_b32_e32 v1, 0xff800000
	s_and_saveexec_b64 s[0:1], vcc
	s_cbranch_execz .LBB2_51
; %bb.50:
	v_lshlrev_b64 v[4:5], 1, v[6:7]
	v_mov_b32_e32 v1, s23
	v_subrev_co_u32_e32 v4, vcc, s22, v4
	v_subb_co_u32_e32 v5, vcc, v5, v1, vcc
	v_lshlrev_b64 v[4:5], 2, v[4:5]
	v_add_co_u32_e32 v4, vcc, v8, v4
	v_addc_co_u32_e32 v5, vcc, v9, v5, vcc
	global_load_dword v1, v[4:5], off
.LBB2_51:
	s_or_b64 exec, exec, s[0:1]
	s_waitcnt vmcnt(0)
	v_cmp_gt_f32_e32 vcc, v0, v1
	v_cndmask_b32_e32 v4, v1, v0, vcc
	s_mov_b32 s0, 0xff800000
	v_cmp_neq_f32_e32 vcc, s0, v4
	v_cndmask_b32_e32 v4, 0, v4, vcc
	v_pk_add_f32 v[0:1], v[0:1], v[4:5] op_sel_hi:[1,0] neg_lo:[0,1] neg_hi:[0,1]
	s_mov_b32 s0, 0x3fb8aa3b
	v_mul_f32_e32 v5, 0x3fb8aa3b, v1
	v_fma_f32 v6, v1, s0, -v5
	v_rndne_f32_e32 v7, v5
	v_fmac_f32_e32 v6, 0x32a5705f, v1
	v_sub_f32_e32 v5, v5, v7
	v_add_f32_e32 v5, v5, v6
	v_exp_f32_e32 v5, v5
	v_cvt_i32_f32_e32 v6, v7
	s_mov_b32 s1, 0xc2ce8ed0
	v_cmp_ngt_f32_e32 vcc, s1, v1
	s_mov_b32 s4, 0x42b17218
	v_ldexp_f32 v5, v5, v6
	v_mul_f32_e32 v6, 0x3fb8aa3b, v0
	v_fma_f32 v7, v0, s0, -v6
	v_rndne_f32_e32 v8, v6
	v_fmac_f32_e32 v7, 0x32a5705f, v0
	v_sub_f32_e32 v6, v6, v8
	v_add_f32_e32 v6, v6, v7
	v_exp_f32_e32 v6, v6
	v_cvt_i32_f32_e32 v7, v8
	v_cndmask_b32_e32 v5, 0, v5, vcc
	v_mov_b32_e32 v8, 0x7f800000
	v_cmp_nlt_f32_e32 vcc, s4, v1
	v_cndmask_b32_e32 v1, v8, v5, vcc
	v_ldexp_f32 v5, v6, v7
	v_cmp_ngt_f32_e32 vcc, s1, v0
	v_cndmask_b32_e32 v5, 0, v5, vcc
	v_cmp_nlt_f32_e32 vcc, s4, v0
	v_cndmask_b32_e32 v0, v8, v5, vcc
	v_add_f32_e32 v0, v0, v1
	s_mov_b32 s0, 0x800000
	v_mov_b32_e32 v1, 0x4f800000
	v_cmp_gt_f32_e32 vcc, s0, v0
	v_cndmask_b32_e32 v1, 1.0, v1, vcc
	v_mul_f32_e32 v0, v0, v1
	v_log_f32_e32 v0, v0
	s_mov_b32 s1, 0x3f317217
	s_mov_b32 s0, 0x7f800000
	v_mul_f32_e32 v1, 0x3f317217, v0
	v_fma_f32 v5, v0, s1, -v1
	v_fmac_f32_e32 v5, 0x3377d1cf, v0
	v_add_f32_e32 v1, v1, v5
	v_cmp_lt_f32_e64 s[0:1], |v0|, s0
	v_cndmask_b32_e64 v0, v0, v1, s[0:1]
	v_mov_b32_e32 v1, 0x41b17218
	v_cndmask_b32_e32 v1, 0, v1, vcc
	v_sub_f32_e32 v0, v0, v1
	v_add_f32_e32 v0, v4, v0
	v_xor_b32_e32 v4, 0x80000000, v0
	v_lshlrev_b64 v[0:1], 2, v[2:3]
	v_mov_b32_e32 v2, s7
	v_add_co_u32_e32 v0, vcc, s6, v0
	v_addc_co_u32_e32 v1, vcc, v2, v1, vcc
	global_store_dword v[0:1], v4, off
.LBB2_52:
	s_or_b64 exec, exec, s[2:3]
                                        ; implicit-def: $vgpr0
                                        ; implicit-def: $vgpr2_vgpr3
                                        ; implicit-def: $vgpr4_vgpr5
.LBB2_53:
	s_andn2_saveexec_b64 s[0:1], s[18:19]
	s_cbranch_execz .LBB2_56
; %bb.54:
	v_and_b32_e32 v0, 0x3ff, v0
	v_cmp_eq_u32_e32 vcc, 0, v0
	s_and_b64 exec, exec, vcc
	s_cbranch_execz .LBB2_56
; %bb.55:
	v_lshlrev_b64 v[0:1], 2, v[2:3]
	v_mov_b32_e32 v2, s7
	v_add_co_u32_e32 v0, vcc, s6, v0
	v_addc_co_u32_e32 v1, vcc, v2, v1, vcc
	v_mov_b32_e32 v2, 0x7f800000
	v_bfrev_b32_e32 v3, 1
	s_waitcnt vmcnt(0)
	v_cmp_eq_u64_e32 vcc, 0, v[4:5]
	v_cndmask_b32_e32 v2, v2, v3, vcc
	global_store_dword v[0:1], v2, off
.LBB2_56:
	s_endpgm
	.section	.rodata,"a",@progbits
	.p2align	6, 0x0
	.amdhsa_kernel _ZN2at6native12_GLOBAL__N_129ctc_loss_log_alpha_gpu_kernelIflEEvPT_PKS3_PKllPKT0_S8_lS4_llllllS8_lll
		.amdhsa_group_segment_fixed_size 0
		.amdhsa_private_segment_fixed_size 0
		.amdhsa_kernarg_size 400
		.amdhsa_user_sgpr_count 6
		.amdhsa_user_sgpr_private_segment_buffer 1
		.amdhsa_user_sgpr_dispatch_ptr 0
		.amdhsa_user_sgpr_queue_ptr 0
		.amdhsa_user_sgpr_kernarg_segment_ptr 1
		.amdhsa_user_sgpr_dispatch_id 0
		.amdhsa_user_sgpr_flat_scratch_init 0
		.amdhsa_user_sgpr_kernarg_preload_length 0
		.amdhsa_user_sgpr_kernarg_preload_offset 0
		.amdhsa_user_sgpr_private_segment_size 0
		.amdhsa_uses_dynamic_stack 0
		.amdhsa_system_sgpr_private_segment_wavefront_offset 0
		.amdhsa_system_sgpr_workgroup_id_x 1
		.amdhsa_system_sgpr_workgroup_id_y 1
		.amdhsa_system_sgpr_workgroup_id_z 0
		.amdhsa_system_sgpr_workgroup_info 0
		.amdhsa_system_vgpr_workitem_id 1
		.amdhsa_next_free_vgpr 50
		.amdhsa_next_free_sgpr 59
		.amdhsa_accum_offset 52
		.amdhsa_reserve_vcc 1
		.amdhsa_reserve_flat_scratch 0
		.amdhsa_float_round_mode_32 0
		.amdhsa_float_round_mode_16_64 0
		.amdhsa_float_denorm_mode_32 3
		.amdhsa_float_denorm_mode_16_64 3
		.amdhsa_dx10_clamp 1
		.amdhsa_ieee_mode 1
		.amdhsa_fp16_overflow 0
		.amdhsa_tg_split 0
		.amdhsa_exception_fp_ieee_invalid_op 0
		.amdhsa_exception_fp_denorm_src 0
		.amdhsa_exception_fp_ieee_div_zero 0
		.amdhsa_exception_fp_ieee_overflow 0
		.amdhsa_exception_fp_ieee_underflow 0
		.amdhsa_exception_fp_ieee_inexact 0
		.amdhsa_exception_int_div_zero 0
	.end_amdhsa_kernel
	.section	.text._ZN2at6native12_GLOBAL__N_129ctc_loss_log_alpha_gpu_kernelIflEEvPT_PKS3_PKllPKT0_S8_lS4_llllllS8_lll,"axG",@progbits,_ZN2at6native12_GLOBAL__N_129ctc_loss_log_alpha_gpu_kernelIflEEvPT_PKS3_PKllPKT0_S8_lS4_llllllS8_lll,comdat
.Lfunc_end2:
	.size	_ZN2at6native12_GLOBAL__N_129ctc_loss_log_alpha_gpu_kernelIflEEvPT_PKS3_PKllPKT0_S8_lS4_llllllS8_lll, .Lfunc_end2-_ZN2at6native12_GLOBAL__N_129ctc_loss_log_alpha_gpu_kernelIflEEvPT_PKS3_PKllPKT0_S8_lS4_llllllS8_lll
                                        ; -- End function
	.section	.AMDGPU.csdata,"",@progbits
; Kernel info:
; codeLenInByte = 3188
; NumSgprs: 63
; NumVgprs: 50
; NumAgprs: 0
; TotalNumVgprs: 50
; ScratchSize: 0
; MemoryBound: 0
; FloatMode: 240
; IeeeMode: 1
; LDSByteSize: 0 bytes/workgroup (compile time only)
; SGPRBlocks: 7
; VGPRBlocks: 6
; NumSGPRsForWavesPerEU: 63
; NumVGPRsForWavesPerEU: 50
; AccumOffset: 52
; Occupancy: 8
; WaveLimiterHint : 1
; COMPUTE_PGM_RSRC2:SCRATCH_EN: 0
; COMPUTE_PGM_RSRC2:USER_SGPR: 6
; COMPUTE_PGM_RSRC2:TRAP_HANDLER: 0
; COMPUTE_PGM_RSRC2:TGID_X_EN: 1
; COMPUTE_PGM_RSRC2:TGID_Y_EN: 1
; COMPUTE_PGM_RSRC2:TGID_Z_EN: 0
; COMPUTE_PGM_RSRC2:TIDIG_COMP_CNT: 1
; COMPUTE_PGM_RSRC3_GFX90A:ACCUM_OFFSET: 12
; COMPUTE_PGM_RSRC3_GFX90A:TG_SPLIT: 0
	.section	.text._ZN2at6native12_GLOBAL__N_129ctc_loss_log_alpha_gpu_kernelIfiEEvPT_PKS3_PKllPKT0_S8_lS4_llllllS8_lll,"axG",@progbits,_ZN2at6native12_GLOBAL__N_129ctc_loss_log_alpha_gpu_kernelIfiEEvPT_PKS3_PKllPKT0_S8_lS4_llllllS8_lll,comdat
	.globl	_ZN2at6native12_GLOBAL__N_129ctc_loss_log_alpha_gpu_kernelIfiEEvPT_PKS3_PKllPKT0_S8_lS4_llllllS8_lll ; -- Begin function _ZN2at6native12_GLOBAL__N_129ctc_loss_log_alpha_gpu_kernelIfiEEvPT_PKS3_PKllPKT0_S8_lS4_llllllS8_lll
	.p2align	8
	.type	_ZN2at6native12_GLOBAL__N_129ctc_loss_log_alpha_gpu_kernelIfiEEvPT_PKS3_PKllPKT0_S8_lS4_llllllS8_lll,@function
_ZN2at6native12_GLOBAL__N_129ctc_loss_log_alpha_gpu_kernelIfiEEvPT_PKS3_PKllPKT0_S8_lS4_llllllS8_lll: ; @_ZN2at6native12_GLOBAL__N_129ctc_loss_log_alpha_gpu_kernelIfiEEvPT_PKS3_PKllPKT0_S8_lS4_llllllS8_lll
; %bb.0:
	s_load_dword s0, s[4:5], 0x9c
	s_load_dwordx4 s[16:19], s[4:5], 0x78
	s_add_u32 s2, s4, 0x90
	s_addc_u32 s3, s5, 0
	v_bfe_u32 v1, v0, 10, 10
	s_waitcnt lgkmcnt(0)
	s_lshr_b32 s0, s0, 16
	s_mul_i32 s7, s7, s0
	v_add_u32_e32 v2, s7, v1
	v_mov_b32_e32 v3, 0
	v_cmp_gt_i64_e32 vcc, s[18:19], v[2:3]
	s_and_saveexec_b64 s[0:1], vcc
	s_cbranch_execz .LBB3_56
; %bb.1:
	s_load_dwordx2 s[0:1], s[4:5], 0x10
	s_load_dwordx2 s[8:9], s[4:5], 0x28
	;; [unrolled: 1-line block ×3, first 2 shown]
	v_lshlrev_b64 v[8:9], 3, v[2:3]
	s_waitcnt lgkmcnt(0)
	v_mov_b32_e32 v1, s1
	v_add_co_u32_e32 v4, vcc, s0, v8
	v_addc_co_u32_e32 v5, vcc, v1, v9, vcc
	global_load_dwordx2 v[6:7], v[4:5], off
	v_mov_b32_e32 v1, s9
	v_add_co_u32_e32 v4, vcc, s8, v8
	v_addc_co_u32_e32 v5, vcc, v1, v9, vcc
	global_load_dwordx2 v[4:5], v[4:5], off
	s_waitcnt vmcnt(1)
	v_cmp_ne_u64_e32 vcc, 0, v[6:7]
	s_and_saveexec_b64 s[0:1], vcc
	s_xor_b64 s[18:19], exec, s[0:1]
	s_cbranch_execz .LBB3_53
; %bb.2:
	s_load_dwordx2 s[0:1], s[4:5], 0x70
	s_load_dwordx4 s[20:23], s[4:5], 0x60
	s_waitcnt lgkmcnt(0)
	v_mov_b32_e32 v1, s1
	v_add_co_u32_e32 v8, vcc, s0, v8
	v_addc_co_u32_e32 v9, vcc, v1, v9, vcc
	global_load_dwordx2 v[10:11], v[8:9], off
	s_load_dwordx4 s[24:27], s[4:5], 0x0
	s_load_dwordx2 s[34:35], s[4:5], 0x20
	s_load_dwordx8 s[8:15], s[4:5], 0x40
	s_load_dwordx2 s[28:29], s[4:5], 0x88
	s_load_dwordx2 s[36:37], s[4:5], 0x30
	s_mov_b64 s[0:1], -1
	s_waitcnt lgkmcnt(0)
	v_mad_u64_u32 v[8:9], s[30:31], v2, s10, 0
	v_mad_u64_u32 v[12:13], s[30:31], v2, s14, 0
	v_mov_b32_e32 v14, v9
	v_mov_b32_e32 v16, v13
	v_mad_u64_u32 v[14:15], s[10:11], v2, s11, v[14:15]
	v_mad_u64_u32 v[16:17], s[10:11], v2, s15, v[16:17]
	s_lshl_b64 s[30:31], s[36:37], 1
	v_cmp_gt_i64_e64 s[36:37], s[36:37], -1
	v_mov_b32_e32 v9, v14
	v_mov_b32_e32 v13, v16
	s_and_b64 vcc, exec, s[36:37]
	v_lshlrev_b64 v[14:15], 2, v[8:9]
	v_lshlrev_b64 v[8:9], 2, v[12:13]
	s_waitcnt vmcnt(0)
	v_lshlrev_b64 v[12:13], 2, v[10:11]
	s_cbranch_vccz .LBB3_17
; %bb.3:
	s_load_dword s14, s[2:3], 0xc
	v_and_b32_e32 v10, 0x3ff, v0
	v_mov_b32_e32 v1, s35
	v_add_co_u32_e32 v16, vcc, s34, v12
	s_waitcnt lgkmcnt(0)
	s_and_b32 s33, s14, 0xffff
	v_mad_u64_u32 v[18:19], s[14:15], s22, v10, 0
	v_mov_b32_e32 v20, v19
	v_addc_co_u32_e32 v17, vcc, v1, v13, vcc
	v_mad_u64_u32 v[20:21], s[14:15], s23, v10, v[20:21]
	v_mov_b32_e32 v11, s27
	v_add_co_u32_e32 v1, vcc, s26, v14
	v_mov_b32_e32 v19, v20
	v_addc_co_u32_e32 v11, vcc, v11, v15, vcc
	v_lshlrev_b64 v[18:19], 2, v[18:19]
	v_add_co_u32_e32 v18, vcc, v18, v8
	v_addc_co_u32_e32 v19, vcc, v19, v9, vcc
	s_mul_i32 s14, s23, s33
	s_mul_hi_u32 s15, s22, s33
	v_mov_b32_e32 v20, s25
	v_add_co_u32_e32 v18, vcc, s24, v18
	s_add_i32 s15, s15, s14
	s_mul_i32 s14, s22, s33
	s_mov_b64 s[10:11], 0
	v_cmp_ne_u64_e64 s[0:1], 0, v[4:5]
	v_addc_co_u32_e32 v19, vcc, v20, v19, vcc
	s_lshl_b64 s[14:15], s[14:15], 2
	s_branch .LBB3_5
.LBB3_4:                                ;   in Loop: Header=BB3_5 Depth=1
	s_or_b64 exec, exec, s[38:39]
	s_add_u32 s10, s10, s33
	v_mov_b32_e32 v20, s15
	v_add_co_u32_e32 v18, vcc, s14, v18
	s_addc_u32 s11, s11, 0
	v_addc_co_u32_e32 v19, vcc, v19, v20, vcc
	v_pk_mov_b32 v[20:21], s[30:31], s[30:31] op_sel:[0,1]
	v_cmp_gt_i64_e32 vcc, s[10:11], v[20:21]
	s_cbranch_vccnz .LBB3_18
.LBB3_5:                                ; =>This Inner Loop Header: Depth=1
	v_mov_b32_e32 v21, s11
	v_add_co_u32_e32 v20, vcc, s10, v10
	v_addc_co_u32_e32 v21, vcc, 0, v21, vcc
	v_cmp_lt_i64_e32 vcc, 0, v[20:21]
	s_mov_b64 s[40:41], 0
                                        ; implicit-def: $vgpr22_vgpr23
                                        ; implicit-def: $sgpr44
	s_and_saveexec_b64 s[38:39], vcc
	s_xor_b64 s[38:39], exec, s[38:39]
	s_cbranch_execz .LBB3_13
; %bb.6:                                ;   in Loop: Header=BB3_5 Depth=1
	v_cmp_eq_u64_e32 vcc, 1, v[20:21]
	s_mov_b64 s[42:43], 0
                                        ; implicit-def: $vgpr22_vgpr23
	s_and_saveexec_b64 s[40:41], vcc
	s_cbranch_execz .LBB3_10
; %bb.7:                                ;   in Loop: Header=BB3_5 Depth=1
                                        ; implicit-def: $vgpr22_vgpr23
	s_and_saveexec_b64 s[44:45], s[0:1]
	s_xor_b64 s[44:45], exec, s[44:45]
	s_cbranch_execz .LBB3_9
; %bb.8:                                ;   in Loop: Header=BB3_5 Depth=1
	global_load_dword v22, v[16:17], off
	s_mov_b64 s[42:43], exec
	s_waitcnt vmcnt(0)
	v_ashrrev_i32_e32 v23, 31, v22
.LBB3_9:                                ;   in Loop: Header=BB3_5 Depth=1
	s_or_b64 exec, exec, s[44:45]
	s_and_b64 s[42:43], s[42:43], exec
.LBB3_10:                               ;   in Loop: Header=BB3_5 Depth=1
	s_or_b64 exec, exec, s[40:41]
	s_mov_b32 s44, 0xff800000
	s_and_b64 s[40:41], s[42:43], exec
	s_or_saveexec_b64 s[38:39], s[38:39]
	s_waitcnt vmcnt(0)
	v_mov_b32_e32 v24, s44
	s_xor_b64 exec, exec, s[38:39]
	s_cbranch_execnz .LBB3_14
.LBB3_11:                               ;   in Loop: Header=BB3_5 Depth=1
	s_or_b64 exec, exec, s[38:39]
	s_and_saveexec_b64 s[38:39], s[40:41]
	s_cbranch_execz .LBB3_15
.LBB3_12:                               ;   in Loop: Header=BB3_5 Depth=1
	v_mul_lo_u32 v24, v23, s12
	v_mul_lo_u32 v25, v22, s13
	v_mad_u64_u32 v[22:23], s[40:41], v22, s12, 0
	v_add3_u32 v23, v23, v25, v24
	v_lshlrev_b64 v[22:23], 2, v[22:23]
	v_add_co_u32_e32 v22, vcc, v1, v22
	v_addc_co_u32_e32 v23, vcc, v11, v23, vcc
	global_load_dword v24, v[22:23], off
	s_or_b64 exec, exec, s[38:39]
	v_cmp_ge_i64_e32 vcc, s[30:31], v[20:21]
	s_and_saveexec_b64 s[38:39], vcc
	s_cbranch_execz .LBB3_4
	s_branch .LBB3_16
.LBB3_13:                               ;   in Loop: Header=BB3_5 Depth=1
	s_or_saveexec_b64 s[38:39], s[38:39]
	s_waitcnt vmcnt(0)
	v_mov_b32_e32 v24, s44
	s_xor_b64 exec, exec, s[38:39]
	s_cbranch_execz .LBB3_11
.LBB3_14:                               ;   in Loop: Header=BB3_5 Depth=1
	v_cmp_eq_u64_e32 vcc, 0, v[20:21]
	s_andn2_b64 s[40:41], s[40:41], exec
	s_and_b64 s[42:43], vcc, exec
	v_pk_mov_b32 v[22:23], s[28:29], s[28:29] op_sel:[0,1]
	v_mov_b32_e32 v24, 0xff800000
	s_or_b64 s[40:41], s[40:41], s[42:43]
	s_or_b64 exec, exec, s[38:39]
	s_and_saveexec_b64 s[38:39], s[40:41]
	s_cbranch_execnz .LBB3_12
.LBB3_15:                               ;   in Loop: Header=BB3_5 Depth=1
	s_or_b64 exec, exec, s[38:39]
	v_cmp_ge_i64_e32 vcc, s[30:31], v[20:21]
	s_and_saveexec_b64 s[38:39], vcc
	s_cbranch_execz .LBB3_4
.LBB3_16:                               ;   in Loop: Header=BB3_5 Depth=1
	s_waitcnt vmcnt(0)
	global_store_dword v[18:19], v24, off
	s_branch .LBB3_4
.LBB3_17:
                                        ; implicit-def: $vgpr10
	s_and_b64 vcc, exec, s[0:1]
	s_cbranch_vccnz .LBB3_19
	s_branch .LBB3_20
.LBB3_18:
	s_branch .LBB3_20
.LBB3_19:
	v_and_b32_e32 v10, 0x3ff, v0
.LBB3_20:
	s_andn2_b64 vcc, exec, s[36:37]
	v_cmp_lt_i64_e64 s[0:1], 0, v[4:5]
	s_cbranch_vccnz .LBB3_48
; %bb.21:
	s_load_dwordx2 s[10:11], s[4:5], 0x18
	s_load_dword s33, s[2:3], 0xc
	v_mov_b32_e32 v0, s35
	v_add_co_u32_e32 v11, vcc, s34, v12
	v_addc_co_u32_e32 v34, vcc, v0, v13, vcc
	v_mad_u64_u32 v[12:13], s[2:3], s22, v10, 0
	v_mov_b32_e32 v16, v13
	s_waitcnt lgkmcnt(0)
	s_and_b32 s33, s33, 0xffff
	v_mad_u64_u32 v[16:17], s[2:3], s23, v10, v[16:17]
	s_lshl_b64 s[36:37], s[20:21], 2
	v_mov_b32_e32 v13, v16
	s_add_u32 s2, s24, s36
	v_lshlrev_b64 v[16:17], 2, v[12:13]
	s_addc_u32 s3, s25, s37
	v_mov_b32_e32 v13, s3
	v_add_co_u32_e32 v12, vcc, s2, v16
	s_mul_i32 s2, s23, s33
	s_mul_hi_u32 s3, s22, s33
	s_add_i32 s3, s3, s2
	s_mul_i32 s2, s22, s33
	s_lshl_b64 s[38:39], s[2:3], 2
	s_lshl_b64 s[8:9], s[8:9], 2
	s_add_u32 s2, s26, s8
	v_addc_co_u32_e32 v13, vcc, v13, v17, vcc
	s_addc_u32 s3, s27, s9
	v_mov_b32_e32 v18, s3
	v_add_co_u32_e32 v14, vcc, s2, v14
	v_addc_co_u32_e32 v15, vcc, v18, v15, vcc
	v_mov_b32_e32 v18, s25
	v_add_co_u32_e32 v16, vcc, s24, v16
	v_addc_co_u32_e32 v17, vcc, v18, v17, vcc
	v_add_co_u32_e32 v18, vcc, -2, v10
	v_addc_co_u32_e64 v19, s[2:3], 0, -1, vcc
	v_mul_lo_u32 v20, s23, v18
	v_mul_lo_u32 v21, s22, v19
	v_mad_u64_u32 v[18:19], s[2:3], s22, v18, 0
	v_add3_u32 v19, v19, v21, v20
	v_lshlrev_b64 v[18:19], 2, v[18:19]
	v_mov_b32_e32 v20, s25
	v_add_co_u32_e32 v18, vcc, s24, v18
	v_addc_co_u32_e32 v19, vcc, v20, v19, vcc
	v_add_co_u32_e32 v20, vcc, -1, v10
	v_addc_co_u32_e64 v21, s[2:3], 0, -1, vcc
	v_mul_lo_u32 v22, s23, v20
	v_mul_lo_u32 v23, s22, v21
	v_mad_u64_u32 v[20:21], s[2:3], s22, v20, 0
	v_add3_u32 v21, v21, v23, v22
	v_lshlrev_b64 v[20:21], 2, v[20:21]
	v_mov_b32_e32 v22, s25
	v_add_co_u32_e32 v20, vcc, s24, v20
	v_lshlrev_b64 v[0:1], 1, v[4:5]
	s_mov_b64 s[14:15], 0
	v_cmp_gt_i64_e64 s[34:35], s[10:11], 1
	s_lshl_b64 s[12:13], s[12:13], 2
	v_addc_co_u32_e32 v21, vcc, v22, v21, vcc
	s_mov_b32 s52, 0xff800000
	s_mov_b32 s53, 0x3fb8aa3b
	;; [unrolled: 1-line block ×7, first 2 shown]
	v_mov_b32_e32 v35, 0x7f800000
	v_mov_b32_e32 v36, 0x4f800000
	;; [unrolled: 1-line block ×3, first 2 shown]
	s_branch .LBB3_23
.LBB3_22:                               ;   in Loop: Header=BB3_23 Depth=1
	v_mov_b32_e32 v22, s39
	v_add_co_u32_e32 v12, vcc, s38, v12
	v_addc_co_u32_e32 v13, vcc, v13, v22, vcc
	v_add_co_u32_e32 v16, vcc, s38, v16
	v_addc_co_u32_e32 v17, vcc, v17, v22, vcc
	;; [unrolled: 2-line block ×3, first 2 shown]
	s_add_u32 s14, s14, s33
	v_add_co_u32_e32 v20, vcc, s38, v20
	s_addc_u32 s15, s15, 0
	v_addc_co_u32_e32 v21, vcc, v21, v22, vcc
	v_pk_mov_b32 v[22:23], s[30:31], s[30:31] op_sel:[0,1]
	v_cmp_gt_i64_e32 vcc, s[14:15], v[22:23]
	s_cbranch_vccnz .LBB3_48
.LBB3_23:                               ; =>This Loop Header: Depth=1
                                        ;     Child Loop BB3_34 Depth 2
	v_mov_b32_e32 v23, s15
	v_add_co_u32_e32 v22, vcc, s14, v10
	v_addc_co_u32_e32 v23, vcc, 0, v23, vcc
	v_cmp_le_i64_e64 s[4:5], v[22:23], v[0:1]
	s_and_b64 s[2:3], s[0:1], s[4:5]
	s_waitcnt vmcnt(0)
	v_pk_mov_b32 v[24:25], s[28:29], s[28:29] op_sel:[0,1]
	s_mov_b64 s[26:27], 0
	s_and_saveexec_b64 s[40:41], s[2:3]
	s_cbranch_execz .LBB3_31
; %bb.24:                               ;   in Loop: Header=BB3_23 Depth=1
	v_and_b32_e32 v24, 1, v22
	v_cmp_eq_u32_e32 vcc, 1, v24
	v_pk_mov_b32 v[24:25], s[28:29], s[28:29] op_sel:[0,1]
	s_and_saveexec_b64 s[26:27], vcc
	s_cbranch_execz .LBB3_26
; %bb.25:                               ;   in Loop: Header=BB3_23 Depth=1
	v_alignbit_b32 v24, v23, v22, 1
	v_lshrrev_b32_e32 v27, 1, v23
	v_mul_lo_u32 v26, v24, s17
	v_mad_u64_u32 v[24:25], s[2:3], v24, s16, 0
	v_mul_lo_u32 v27, v27, s16
	v_add3_u32 v25, v25, v26, v27
	v_lshlrev_b64 v[24:25], 2, v[24:25]
	v_add_co_u32_e64 v24, s[2:3], v11, v24
	v_addc_co_u32_e64 v25, s[2:3], v34, v25, s[2:3]
	global_load_dword v24, v[24:25], off
	s_waitcnt vmcnt(0)
	v_ashrrev_i32_e32 v25, 31, v24
.LBB3_26:                               ;   in Loop: Header=BB3_23 Depth=1
	s_or_b64 exec, exec, s[26:27]
	v_cmp_lt_u64_e64 s[2:3], 1, v[22:23]
	s_mov_b64 s[42:43], 0
	s_and_saveexec_b64 s[26:27], s[2:3]
	s_cbranch_execz .LBB3_30
; %bb.27:                               ;   in Loop: Header=BB3_23 Depth=1
	v_pk_mov_b32 v[26:27], s[28:29], s[28:29] op_sel:[0,1]
	s_and_saveexec_b64 s[2:3], vcc
	s_cbranch_execz .LBB3_29
; %bb.28:                               ;   in Loop: Header=BB3_23 Depth=1
	v_add_co_u32_e32 v26, vcc, -2, v22
	v_addc_co_u32_e32 v27, vcc, -1, v23, vcc
	v_lshrrev_b32_e32 v28, 31, v27
	v_add_co_u32_e32 v26, vcc, v26, v28
	v_addc_co_u32_e32 v27, vcc, 0, v27, vcc
	v_ashrrev_i64 v[26:27], 1, v[26:27]
	v_mul_lo_u32 v28, v27, s16
	v_mul_lo_u32 v29, v26, s17
	v_mad_u64_u32 v[26:27], s[42:43], v26, s16, 0
	v_add3_u32 v27, v27, v29, v28
	v_lshlrev_b64 v[26:27], 2, v[26:27]
	v_add_co_u32_e32 v26, vcc, v11, v26
	v_addc_co_u32_e32 v27, vcc, v34, v27, vcc
	global_load_dword v26, v[26:27], off
	s_waitcnt vmcnt(0)
	v_ashrrev_i32_e32 v27, 31, v26
.LBB3_29:                               ;   in Loop: Header=BB3_23 Depth=1
	s_or_b64 exec, exec, s[2:3]
	v_cmp_ne_u64_e32 vcc, v[26:27], v[24:25]
	s_and_b64 s[42:43], vcc, exec
.LBB3_30:                               ;   in Loop: Header=BB3_23 Depth=1
	s_or_b64 exec, exec, s[26:27]
	s_and_b64 s[26:27], s[42:43], exec
.LBB3_31:                               ;   in Loop: Header=BB3_23 Depth=1
	s_or_b64 exec, exec, s[40:41]
	s_andn2_b64 vcc, exec, s[34:35]
	s_cbranch_vccnz .LBB3_22
; %bb.32:                               ;   in Loop: Header=BB3_23 Depth=1
	v_cmp_ge_i64_e32 vcc, s[30:31], v[22:23]
	v_cmp_ne_u64_e64 s[2:3], 0, v[22:23]
	v_mad_u64_u32 v[22:23], s[40:41], s12, v24, v[14:15]
	v_mul_lo_u32 v25, s12, v25
	v_mul_lo_u32 v24, s13, v24
	v_add3_u32 v23, v24, v23, v25
	s_mov_b64 s[40:41], 1
	s_xor_b64 s[42:43], s[4:5], -1
	v_pk_mov_b32 v[24:25], v[20:21], v[20:21] op_sel:[0,1]
	v_pk_mov_b32 v[26:27], v[18:19], v[18:19] op_sel:[0,1]
	;; [unrolled: 1-line block ×4, first 2 shown]
	s_branch .LBB3_34
.LBB3_33:                               ;   in Loop: Header=BB3_34 Depth=2
	s_or_b64 exec, exec, s[46:47]
	v_mov_b32_e32 v32, s37
	v_add_co_u32_e64 v30, s[4:5], s36, v30
	v_addc_co_u32_e64 v31, s[4:5], v31, v32, s[4:5]
	v_mov_b32_e32 v33, s9
	v_add_co_u32_e64 v22, s[4:5], s8, v22
	v_addc_co_u32_e64 v23, s[4:5], v23, v33, s[4:5]
	v_add_co_u32_e64 v28, s[4:5], s36, v28
	v_addc_co_u32_e64 v29, s[4:5], v29, v32, s[4:5]
	v_add_co_u32_e64 v26, s[4:5], s36, v26
	s_add_u32 s40, s40, 1
	v_addc_co_u32_e64 v27, s[4:5], v27, v32, s[4:5]
	s_addc_u32 s41, s41, 0
	v_add_co_u32_e64 v24, s[4:5], s36, v24
	s_cmp_eq_u64 s[10:11], s[40:41]
	v_addc_co_u32_e64 v25, s[4:5], v25, v32, s[4:5]
	s_cbranch_scc1 .LBB3_22
.LBB3_34:                               ;   Parent Loop BB3_23 Depth=1
                                        ; =>  This Inner Loop Header: Depth=2
	v_cmp_ge_i64_e64 s[4:5], s[40:41], v[6:7]
	s_or_b64 s[4:5], s[42:43], s[4:5]
	s_mov_b64 s[44:45], 0
	s_barrier
	s_waitcnt lgkmcnt(0)
                                        ; implicit-def: $sgpr48
	s_and_saveexec_b64 s[46:47], s[4:5]
	s_xor_b64 s[4:5], exec, s[46:47]
	s_cbranch_execz .LBB3_37
; %bb.35:                               ;   in Loop: Header=BB3_34 Depth=2
	s_mov_b32 s48, 0xff800000
	s_and_b64 s[44:45], vcc, exec
	s_or_saveexec_b64 s[46:47], s[4:5]
	v_mov_b32_e32 v32, s48
	s_xor_b64 exec, exec, s[46:47]
	s_cbranch_execnz .LBB3_38
.LBB3_36:                               ;   in Loop: Header=BB3_34 Depth=2
	s_or_b64 exec, exec, s[46:47]
	s_and_saveexec_b64 s[46:47], s[44:45]
	s_cbranch_execz .LBB3_33
	s_branch .LBB3_47
.LBB3_37:                               ;   in Loop: Header=BB3_34 Depth=2
	s_or_saveexec_b64 s[46:47], s[4:5]
	v_mov_b32_e32 v32, s48
	s_xor_b64 exec, exec, s[46:47]
	s_cbranch_execz .LBB3_36
.LBB3_38:                               ;   in Loop: Header=BB3_34 Depth=2
	v_add_co_u32_e64 v32, s[4:5], v28, v8
	v_addc_co_u32_e64 v33, s[4:5], v29, v9, s[4:5]
	global_load_dword v32, v[32:33], off
	v_mov_b32_e32 v38, 0xff800000
	v_mov_b32_e32 v33, 0xff800000
	s_waitcnt vmcnt(0)
	v_mov_b32_e32 v39, v32
	s_and_saveexec_b64 s[48:49], s[2:3]
	s_cbranch_execz .LBB3_42
; %bb.39:                               ;   in Loop: Header=BB3_34 Depth=2
	v_add_co_u32_e64 v40, s[4:5], v24, v8
	v_addc_co_u32_e64 v41, s[4:5], v25, v9, s[4:5]
	global_load_dword v33, v[40:41], off
	v_mov_b32_e32 v39, v32
	s_waitcnt vmcnt(0)
	v_cmp_gt_f32_e64 s[4:5], v33, v32
	s_and_saveexec_b64 s[50:51], s[4:5]
; %bb.40:                               ;   in Loop: Header=BB3_34 Depth=2
	v_mov_b32_e32 v39, v33
; %bb.41:                               ;   in Loop: Header=BB3_34 Depth=2
	s_or_b64 exec, exec, s[50:51]
.LBB3_42:                               ;   in Loop: Header=BB3_34 Depth=2
	s_or_b64 exec, exec, s[48:49]
	s_and_saveexec_b64 s[48:49], s[26:27]
	s_cbranch_execz .LBB3_46
; %bb.43:                               ;   in Loop: Header=BB3_34 Depth=2
	v_add_co_u32_e64 v40, s[4:5], v26, v8
	v_addc_co_u32_e64 v41, s[4:5], v27, v9, s[4:5]
	global_load_dword v38, v[40:41], off
	s_waitcnt vmcnt(0)
	v_cmp_gt_f32_e64 s[4:5], v38, v39
	s_and_saveexec_b64 s[50:51], s[4:5]
; %bb.44:                               ;   in Loop: Header=BB3_34 Depth=2
	v_mov_b32_e32 v39, v38
; %bb.45:                               ;   in Loop: Header=BB3_34 Depth=2
	s_or_b64 exec, exec, s[50:51]
.LBB3_46:                               ;   in Loop: Header=BB3_34 Depth=2
	s_or_b64 exec, exec, s[48:49]
	global_load_dword v41, v[22:23], off
	v_cmp_neq_f32_e64 s[4:5], s52, v39
	v_cndmask_b32_e64 v40, 0, v39, s[4:5]
	v_sub_f32_e32 v38, v38, v40
	v_mul_f32_e32 v43, 0x3fb8aa3b, v38
	v_fma_f32 v48, v38, s53, -v43
	v_rndne_f32_e32 v49, v43
	v_fmac_f32_e32 v48, 0x32a5705f, v38
	v_sub_f32_e32 v43, v43, v49
	v_add_f32_e32 v43, v43, v48
	v_cvt_i32_f32_e32 v49, v49
	v_exp_f32_e32 v43, v43
	s_or_b64 s[44:45], s[44:45], exec
	v_ldexp_f32 v43, v43, v49
	s_waitcnt vmcnt(0)
	v_pk_add_f32 v[32:33], v[32:33], v[40:41] op_sel_hi:[1,0] neg_lo:[0,1] neg_hi:[0,1]
	v_mul_f32_e32 v39, 0x3fb8aa3b, v33
	v_mul_f32_e32 v42, 0x3fb8aa3b, v32
	v_fma_f32 v44, v33, s53, -v39
	v_rndne_f32_e32 v45, v39
	v_fma_f32 v46, v32, s53, -v42
	v_rndne_f32_e32 v47, v42
	v_fmac_f32_e32 v44, 0x32a5705f, v33
	v_sub_f32_e32 v39, v39, v45
	v_fmac_f32_e32 v46, 0x32a5705f, v32
	v_sub_f32_e32 v42, v42, v47
	v_add_f32_e32 v39, v39, v44
	v_cvt_i32_f32_e32 v45, v45
	v_add_f32_e32 v42, v42, v46
	v_exp_f32_e32 v39, v39
	v_cvt_i32_f32_e32 v47, v47
	v_exp_f32_e32 v42, v42
	v_cmp_ngt_f32_e64 s[4:5], s54, v33
	v_ldexp_f32 v39, v39, v45
	v_cndmask_b32_e64 v39, 0, v39, s[4:5]
	v_ldexp_f32 v42, v42, v47
	v_cmp_ngt_f32_e64 s[4:5], s54, v32
	v_cndmask_b32_e64 v42, 0, v42, s[4:5]
	v_cmp_ngt_f32_e64 s[4:5], s54, v38
	v_cndmask_b32_e64 v43, 0, v43, s[4:5]
	v_cmp_nlt_f32_e64 s[4:5], s55, v33
	v_cndmask_b32_e64 v33, v35, v39, s[4:5]
	v_cmp_nlt_f32_e64 s[4:5], s55, v32
	;; [unrolled: 2-line block ×3, first 2 shown]
	v_cndmask_b32_e64 v38, v35, v43, s[4:5]
	v_add_f32_e32 v32, v32, v33
	v_add_f32_e32 v32, v38, v32
	v_cmp_gt_f32_e64 s[4:5], s57, v32
	v_cndmask_b32_e64 v33, 1.0, v36, s[4:5]
	v_mul_f32_e32 v32, v32, v33
	v_log_f32_e32 v32, v32
	v_cndmask_b32_e64 v33, 0, v37, s[4:5]
	v_mul_f32_e32 v38, 0x3f317217, v32
	v_fma_f32 v39, v32, s58, -v38
	v_fmac_f32_e32 v39, 0x3377d1cf, v32
	v_add_f32_e32 v38, v38, v39
	v_cmp_lt_f32_e64 s[4:5], |v32|, s56
	v_cndmask_b32_e64 v32, v32, v38, s[4:5]
	v_sub_f32_e32 v32, v32, v33
	v_add_f32_e32 v32, v40, v32
	v_add_f32_e32 v32, v41, v32
	s_or_b64 exec, exec, s[46:47]
	s_and_saveexec_b64 s[46:47], s[44:45]
	s_cbranch_execz .LBB3_33
.LBB3_47:                               ;   in Loop: Header=BB3_34 Depth=2
	v_add_co_u32_e64 v38, s[4:5], v30, v8
	v_addc_co_u32_e64 v39, s[4:5], v31, v9, s[4:5]
	global_store_dword v[38:39], v32, off
	s_branch .LBB3_33
.LBB3_48:
	v_cmp_eq_u32_e32 vcc, 0, v10
	s_barrier
	s_and_saveexec_b64 s[2:3], vcc
	s_cbranch_execz .LBB3_52
; %bb.49:
	v_add_co_u32_e32 v0, vcc, -1, v6
	v_addc_co_u32_e32 v1, vcc, -1, v7, vcc
	v_mul_lo_u32 v6, v1, s20
	v_mul_lo_u32 v7, v0, s21
	v_mad_u64_u32 v[0:1], s[0:1], v0, s20, 0
	v_add3_u32 v1, v1, v7, v6
	v_mul_lo_u32 v10, v5, s22
	v_mul_lo_u32 v11, v4, s23
	v_mad_u64_u32 v[6:7], s[0:1], v4, s22, 0
	v_add3_u32 v7, v7, v11, v10
	v_mov_b32_e32 v10, s25
	v_add_co_u32_e32 v8, vcc, s24, v8
	v_addc_co_u32_e32 v9, vcc, v10, v9, vcc
	v_lshlrev_b64 v[0:1], 2, v[0:1]
	v_add_co_u32_e32 v8, vcc, v8, v0
	v_addc_co_u32_e32 v9, vcc, v9, v1, vcc
	v_lshlrev_b64 v[0:1], 3, v[6:7]
	v_add_co_u32_e32 v0, vcc, v8, v0
	v_addc_co_u32_e32 v1, vcc, v9, v1, vcc
	global_load_dword v0, v[0:1], off
	v_cmp_lt_i64_e32 vcc, 0, v[4:5]
	v_mov_b32_e32 v1, 0xff800000
	s_and_saveexec_b64 s[0:1], vcc
	s_cbranch_execz .LBB3_51
; %bb.50:
	v_lshlrev_b64 v[4:5], 1, v[6:7]
	v_mov_b32_e32 v1, s23
	v_subrev_co_u32_e32 v4, vcc, s22, v4
	v_subb_co_u32_e32 v5, vcc, v5, v1, vcc
	v_lshlrev_b64 v[4:5], 2, v[4:5]
	v_add_co_u32_e32 v4, vcc, v8, v4
	v_addc_co_u32_e32 v5, vcc, v9, v5, vcc
	global_load_dword v1, v[4:5], off
.LBB3_51:
	s_or_b64 exec, exec, s[0:1]
	s_waitcnt vmcnt(0)
	v_cmp_gt_f32_e32 vcc, v0, v1
	v_cndmask_b32_e32 v4, v1, v0, vcc
	s_mov_b32 s0, 0xff800000
	v_cmp_neq_f32_e32 vcc, s0, v4
	v_cndmask_b32_e32 v4, 0, v4, vcc
	v_pk_add_f32 v[0:1], v[0:1], v[4:5] op_sel_hi:[1,0] neg_lo:[0,1] neg_hi:[0,1]
	s_mov_b32 s0, 0x3fb8aa3b
	v_mul_f32_e32 v5, 0x3fb8aa3b, v1
	v_fma_f32 v6, v1, s0, -v5
	v_rndne_f32_e32 v7, v5
	v_fmac_f32_e32 v6, 0x32a5705f, v1
	v_sub_f32_e32 v5, v5, v7
	v_add_f32_e32 v5, v5, v6
	v_exp_f32_e32 v5, v5
	v_cvt_i32_f32_e32 v6, v7
	s_mov_b32 s1, 0xc2ce8ed0
	v_cmp_ngt_f32_e32 vcc, s1, v1
	s_mov_b32 s4, 0x42b17218
	v_ldexp_f32 v5, v5, v6
	v_mul_f32_e32 v6, 0x3fb8aa3b, v0
	v_fma_f32 v7, v0, s0, -v6
	v_rndne_f32_e32 v8, v6
	v_fmac_f32_e32 v7, 0x32a5705f, v0
	v_sub_f32_e32 v6, v6, v8
	v_add_f32_e32 v6, v6, v7
	v_exp_f32_e32 v6, v6
	v_cvt_i32_f32_e32 v7, v8
	v_cndmask_b32_e32 v5, 0, v5, vcc
	v_mov_b32_e32 v8, 0x7f800000
	v_cmp_nlt_f32_e32 vcc, s4, v1
	v_cndmask_b32_e32 v1, v8, v5, vcc
	v_ldexp_f32 v5, v6, v7
	v_cmp_ngt_f32_e32 vcc, s1, v0
	v_cndmask_b32_e32 v5, 0, v5, vcc
	v_cmp_nlt_f32_e32 vcc, s4, v0
	v_cndmask_b32_e32 v0, v8, v5, vcc
	v_add_f32_e32 v0, v0, v1
	s_mov_b32 s0, 0x800000
	v_mov_b32_e32 v1, 0x4f800000
	v_cmp_gt_f32_e32 vcc, s0, v0
	v_cndmask_b32_e32 v1, 1.0, v1, vcc
	v_mul_f32_e32 v0, v0, v1
	v_log_f32_e32 v0, v0
	s_mov_b32 s1, 0x3f317217
	s_mov_b32 s0, 0x7f800000
	v_mul_f32_e32 v1, 0x3f317217, v0
	v_fma_f32 v5, v0, s1, -v1
	v_fmac_f32_e32 v5, 0x3377d1cf, v0
	v_add_f32_e32 v1, v1, v5
	v_cmp_lt_f32_e64 s[0:1], |v0|, s0
	v_cndmask_b32_e64 v0, v0, v1, s[0:1]
	v_mov_b32_e32 v1, 0x41b17218
	v_cndmask_b32_e32 v1, 0, v1, vcc
	v_sub_f32_e32 v0, v0, v1
	v_add_f32_e32 v0, v4, v0
	v_xor_b32_e32 v4, 0x80000000, v0
	v_lshlrev_b64 v[0:1], 2, v[2:3]
	v_mov_b32_e32 v2, s7
	v_add_co_u32_e32 v0, vcc, s6, v0
	v_addc_co_u32_e32 v1, vcc, v2, v1, vcc
	global_store_dword v[0:1], v4, off
.LBB3_52:
	s_or_b64 exec, exec, s[2:3]
                                        ; implicit-def: $vgpr0
                                        ; implicit-def: $vgpr2_vgpr3
                                        ; implicit-def: $vgpr4_vgpr5
.LBB3_53:
	s_andn2_saveexec_b64 s[0:1], s[18:19]
	s_cbranch_execz .LBB3_56
; %bb.54:
	v_and_b32_e32 v0, 0x3ff, v0
	v_cmp_eq_u32_e32 vcc, 0, v0
	s_and_b64 exec, exec, vcc
	s_cbranch_execz .LBB3_56
; %bb.55:
	v_lshlrev_b64 v[0:1], 2, v[2:3]
	v_mov_b32_e32 v2, s7
	v_add_co_u32_e32 v0, vcc, s6, v0
	v_addc_co_u32_e32 v1, vcc, v2, v1, vcc
	v_mov_b32_e32 v2, 0x7f800000
	v_bfrev_b32_e32 v3, 1
	s_waitcnt vmcnt(0)
	v_cmp_eq_u64_e32 vcc, 0, v[4:5]
	v_cndmask_b32_e32 v2, v2, v3, vcc
	global_store_dword v[0:1], v2, off
.LBB3_56:
	s_endpgm
	.section	.rodata,"a",@progbits
	.p2align	6, 0x0
	.amdhsa_kernel _ZN2at6native12_GLOBAL__N_129ctc_loss_log_alpha_gpu_kernelIfiEEvPT_PKS3_PKllPKT0_S8_lS4_llllllS8_lll
		.amdhsa_group_segment_fixed_size 0
		.amdhsa_private_segment_fixed_size 0
		.amdhsa_kernarg_size 400
		.amdhsa_user_sgpr_count 6
		.amdhsa_user_sgpr_private_segment_buffer 1
		.amdhsa_user_sgpr_dispatch_ptr 0
		.amdhsa_user_sgpr_queue_ptr 0
		.amdhsa_user_sgpr_kernarg_segment_ptr 1
		.amdhsa_user_sgpr_dispatch_id 0
		.amdhsa_user_sgpr_flat_scratch_init 0
		.amdhsa_user_sgpr_kernarg_preload_length 0
		.amdhsa_user_sgpr_kernarg_preload_offset 0
		.amdhsa_user_sgpr_private_segment_size 0
		.amdhsa_uses_dynamic_stack 0
		.amdhsa_system_sgpr_private_segment_wavefront_offset 0
		.amdhsa_system_sgpr_workgroup_id_x 1
		.amdhsa_system_sgpr_workgroup_id_y 1
		.amdhsa_system_sgpr_workgroup_id_z 0
		.amdhsa_system_sgpr_workgroup_info 0
		.amdhsa_system_vgpr_workitem_id 1
		.amdhsa_next_free_vgpr 50
		.amdhsa_next_free_sgpr 59
		.amdhsa_accum_offset 52
		.amdhsa_reserve_vcc 1
		.amdhsa_reserve_flat_scratch 0
		.amdhsa_float_round_mode_32 0
		.amdhsa_float_round_mode_16_64 0
		.amdhsa_float_denorm_mode_32 3
		.amdhsa_float_denorm_mode_16_64 3
		.amdhsa_dx10_clamp 1
		.amdhsa_ieee_mode 1
		.amdhsa_fp16_overflow 0
		.amdhsa_tg_split 0
		.amdhsa_exception_fp_ieee_invalid_op 0
		.amdhsa_exception_fp_denorm_src 0
		.amdhsa_exception_fp_ieee_div_zero 0
		.amdhsa_exception_fp_ieee_overflow 0
		.amdhsa_exception_fp_ieee_underflow 0
		.amdhsa_exception_fp_ieee_inexact 0
		.amdhsa_exception_int_div_zero 0
	.end_amdhsa_kernel
	.section	.text._ZN2at6native12_GLOBAL__N_129ctc_loss_log_alpha_gpu_kernelIfiEEvPT_PKS3_PKllPKT0_S8_lS4_llllllS8_lll,"axG",@progbits,_ZN2at6native12_GLOBAL__N_129ctc_loss_log_alpha_gpu_kernelIfiEEvPT_PKS3_PKllPKT0_S8_lS4_llllllS8_lll,comdat
.Lfunc_end3:
	.size	_ZN2at6native12_GLOBAL__N_129ctc_loss_log_alpha_gpu_kernelIfiEEvPT_PKS3_PKllPKT0_S8_lS4_llllllS8_lll, .Lfunc_end3-_ZN2at6native12_GLOBAL__N_129ctc_loss_log_alpha_gpu_kernelIfiEEvPT_PKS3_PKllPKT0_S8_lS4_llllllS8_lll
                                        ; -- End function
	.section	.AMDGPU.csdata,"",@progbits
; Kernel info:
; codeLenInByte = 3192
; NumSgprs: 63
; NumVgprs: 50
; NumAgprs: 0
; TotalNumVgprs: 50
; ScratchSize: 0
; MemoryBound: 0
; FloatMode: 240
; IeeeMode: 1
; LDSByteSize: 0 bytes/workgroup (compile time only)
; SGPRBlocks: 7
; VGPRBlocks: 6
; NumSGPRsForWavesPerEU: 63
; NumVGPRsForWavesPerEU: 50
; AccumOffset: 52
; Occupancy: 8
; WaveLimiterHint : 1
; COMPUTE_PGM_RSRC2:SCRATCH_EN: 0
; COMPUTE_PGM_RSRC2:USER_SGPR: 6
; COMPUTE_PGM_RSRC2:TRAP_HANDLER: 0
; COMPUTE_PGM_RSRC2:TGID_X_EN: 1
; COMPUTE_PGM_RSRC2:TGID_Y_EN: 1
; COMPUTE_PGM_RSRC2:TGID_Z_EN: 0
; COMPUTE_PGM_RSRC2:TIDIG_COMP_CNT: 1
; COMPUTE_PGM_RSRC3_GFX90A:ACCUM_OFFSET: 12
; COMPUTE_PGM_RSRC3_GFX90A:TG_SPLIT: 0
	.section	.text._ZN2at6native12_GLOBAL__N_137ctc_loss_backward_log_beta_gpu_kernelIdlEEvPT_PKS3_PKllPKT0_S8_lllllllS8_lll,"axG",@progbits,_ZN2at6native12_GLOBAL__N_137ctc_loss_backward_log_beta_gpu_kernelIdlEEvPT_PKS3_PKllPKT0_S8_lllllllS8_lll,comdat
	.globl	_ZN2at6native12_GLOBAL__N_137ctc_loss_backward_log_beta_gpu_kernelIdlEEvPT_PKS3_PKllPKT0_S8_lllllllS8_lll ; -- Begin function _ZN2at6native12_GLOBAL__N_137ctc_loss_backward_log_beta_gpu_kernelIdlEEvPT_PKS3_PKllPKT0_S8_lllllllS8_lll
	.p2align	8
	.type	_ZN2at6native12_GLOBAL__N_137ctc_loss_backward_log_beta_gpu_kernelIdlEEvPT_PKS3_PKllPKT0_S8_lllllllS8_lll,@function
_ZN2at6native12_GLOBAL__N_137ctc_loss_backward_log_beta_gpu_kernelIdlEEvPT_PKS3_PKllPKT0_S8_lllllllS8_lll: ; @_ZN2at6native12_GLOBAL__N_137ctc_loss_backward_log_beta_gpu_kernelIdlEEvPT_PKS3_PKllPKT0_S8_lllllllS8_lll
; %bb.0:
	s_load_dword s2, s[4:5], 0x94
	s_load_dwordx4 s[24:27], s[4:5], 0x70
	s_add_u32 s0, s4, 0x88
	s_addc_u32 s1, s5, 0
	v_bfe_u32 v1, v0, 10, 10
	s_waitcnt lgkmcnt(0)
	s_lshr_b32 s2, s2, 16
	s_mul_i32 s7, s7, s2
	v_add_u32_e32 v12, s7, v1
	v_mov_b32_e32 v13, 0
	v_cmp_gt_i64_e32 vcc, s[26:27], v[12:13]
	s_and_saveexec_b64 s[2:3], vcc
	s_cbranch_execz .LBB4_43
; %bb.1:
	s_load_dwordx2 s[2:3], s[4:5], 0x10
	v_lshlrev_b64 v[4:5], 3, v[12:13]
	s_waitcnt lgkmcnt(0)
	v_mov_b32_e32 v1, s3
	v_add_co_u32_e32 v2, vcc, s2, v4
	v_addc_co_u32_e32 v3, vcc, v1, v5, vcc
	global_load_dwordx2 v[2:3], v[2:3], off
	s_waitcnt vmcnt(0)
	v_cmp_ne_u64_e32 vcc, 0, v[2:3]
	s_and_b64 exec, exec, vcc
	s_cbranch_execz .LBB4_43
; %bb.2:
	s_load_dwordx2 s[2:3], s[4:5], 0x28
	s_load_dwordx2 s[6:7], s[4:5], 0x68
	s_waitcnt lgkmcnt(0)
	v_mov_b32_e32 v1, s3
	v_add_co_u32_e32 v6, vcc, s2, v4
	v_addc_co_u32_e32 v7, vcc, v1, v5, vcc
	v_mov_b32_e32 v1, s7
	v_add_co_u32_e32 v4, vcc, s6, v4
	v_addc_co_u32_e32 v5, vcc, v1, v5, vcc
	global_load_dwordx2 v[14:15], v[6:7], off
	s_nop 0
	global_load_dwordx2 v[6:7], v[4:5], off
	s_load_dwordx8 s[8:15], s[4:5], 0x30
	s_load_dword s2, s[0:1], 0xc
	s_mov_b32 s0, 0
	s_waitcnt lgkmcnt(0)
	s_lshl_b64 s[26:27], s[8:9], 1
	s_and_b32 s33, s2, 0xffff
	s_mov_b32 s1, s27
	s_cmp_lg_u64 s[0:1], 0
	s_cbranch_scc0 .LBB4_44
; %bb.3:
	v_cvt_f32_u32_e32 v1, s33
	v_cvt_f32_ubyte0_e32 v4, 0
	s_sub_u32 s2, 0, s33
	s_subb_u32 s3, 0, 0
	v_madmk_f32 v1, v4, 0x4f800000, v1
	v_rcp_f32_e32 v1, v1
	v_mul_f32_e32 v1, 0x5f7ffffc, v1
	v_mul_f32_e32 v4, 0x2f800000, v1
	v_trunc_f32_e32 v4, v4
	v_madmk_f32 v1, v4, 0xcf800000, v1
	v_cvt_u32_f32_e32 v4, v4
	v_cvt_u32_f32_e32 v1, v1
	v_readfirstlane_b32 s6, v4
	v_readfirstlane_b32 s7, v1
	s_mul_i32 s8, s2, s6
	s_mul_hi_u32 s16, s2, s7
	s_mul_i32 s9, s3, s7
	s_add_i32 s8, s16, s8
	s_add_i32 s8, s8, s9
	s_mul_i32 s17, s2, s7
	s_mul_hi_u32 s9, s7, s8
	s_mul_i32 s16, s7, s8
	s_mul_hi_u32 s7, s7, s17
	s_add_u32 s7, s7, s16
	s_addc_u32 s9, 0, s9
	s_mul_hi_u32 s18, s6, s17
	s_mul_i32 s17, s6, s17
	s_add_u32 s7, s7, s17
	s_mul_hi_u32 s16, s6, s8
	s_addc_u32 s7, s9, s18
	s_addc_u32 s9, s16, 0
	s_mul_i32 s8, s6, s8
	s_add_u32 s7, s7, s8
	s_addc_u32 s8, 0, s9
	v_add_co_u32_e32 v1, vcc, s7, v1
	s_cmp_lg_u64 vcc, 0
	s_addc_u32 s6, s6, s8
	v_readfirstlane_b32 s8, v1
	s_mul_i32 s7, s2, s6
	s_mul_hi_u32 s9, s2, s8
	s_add_i32 s7, s9, s7
	s_mul_i32 s3, s3, s8
	s_add_i32 s7, s7, s3
	s_mul_i32 s2, s2, s8
	s_mul_hi_u32 s9, s6, s2
	s_mul_i32 s16, s6, s2
	s_mul_i32 s18, s8, s7
	s_mul_hi_u32 s2, s8, s2
	s_mul_hi_u32 s17, s8, s7
	s_add_u32 s2, s2, s18
	s_addc_u32 s8, 0, s17
	s_add_u32 s2, s2, s16
	s_mul_hi_u32 s3, s6, s7
	s_addc_u32 s2, s8, s9
	s_addc_u32 s3, s3, 0
	s_mul_i32 s7, s6, s7
	s_add_u32 s2, s2, s7
	s_addc_u32 s3, 0, s3
	v_add_co_u32_e32 v1, vcc, s2, v1
	s_cmp_lg_u64 vcc, 0
	s_addc_u32 s8, s6, s3
	s_ashr_i32 s2, s27, 31
	s_add_u32 s6, s26, s2
	s_mov_b32 s3, s2
	s_addc_u32 s7, s27, s2
	s_xor_b64 s[6:7], s[6:7], s[2:3]
	v_readfirstlane_b32 s16, v1
	s_mul_i32 s9, s6, s8
	s_mul_hi_u32 s17, s6, s16
	s_mul_hi_u32 s3, s6, s8
	s_add_u32 s9, s17, s9
	s_addc_u32 s3, 0, s3
	s_mul_hi_u32 s18, s7, s16
	s_mul_i32 s16, s7, s16
	s_add_u32 s9, s9, s16
	s_mul_hi_u32 s17, s7, s8
	s_addc_u32 s3, s3, s18
	s_addc_u32 s9, s17, 0
	s_mul_i32 s8, s7, s8
	s_add_u32 s3, s3, s8
	s_addc_u32 s8, 0, s9
	s_mul_hi_u32 s9, s33, s3
	s_mul_i32 s3, s33, s3
	s_mul_i32 s8, s33, s8
	v_mov_b32_e32 v1, s3
	s_add_i32 s9, s9, s8
	v_sub_co_u32_e32 v1, vcc, s6, v1
	s_cmp_lg_u64 vcc, 0
	s_subb_u32 s3, s7, s9
	v_subrev_co_u32_e32 v4, vcc, s33, v1
	s_cmp_lg_u64 vcc, 0
	s_subb_u32 s6, s3, 0
	v_subrev_co_u32_e32 v5, vcc, s33, v4
	s_cmp_lg_u64 vcc, 0
	s_subb_u32 s7, s6, 0
	v_cmp_le_u32_e32 vcc, s33, v4
	s_cmp_eq_u32 s6, 0
	v_cndmask_b32_e64 v8, 0, -1, vcc
	s_cselect_b64 vcc, -1, 0
	v_cndmask_b32_e32 v8, -1, v8, vcc
	v_mov_b32_e32 v9, s6
	v_mov_b32_e32 v10, s7
	v_cmp_ne_u32_e32 vcc, 0, v8
	v_cndmask_b32_e32 v8, v9, v10, vcc
	v_cndmask_b32_e32 v4, v4, v5, vcc
	v_cmp_le_u32_e32 vcc, s33, v1
	s_cmp_eq_u32 s3, 0
	v_cndmask_b32_e64 v5, 0, -1, vcc
	s_cselect_b64 vcc, -1, 0
	v_cndmask_b32_e32 v5, -1, v5, vcc
	v_cmp_ne_u32_e32 vcc, 0, v5
	v_mov_b32_e32 v9, s3
	v_cndmask_b32_e32 v1, v1, v4, vcc
	v_cndmask_b32_e32 v5, v9, v8, vcc
	v_xor_b32_e32 v1, s2, v1
	v_xor_b32_e32 v4, s2, v5
	v_mov_b32_e32 v5, s2
	v_subrev_co_u32_e32 v20, vcc, s2, v1
	v_subb_co_u32_e32 v21, vcc, v4, v5, vcc
	s_cbranch_execnz .LBB4_5
.LBB4_4:
	v_cvt_f32_u32_e32 v1, s33
	s_sub_i32 s0, 0, s33
	s_mov_b32 s1, 0
	v_rcp_iflag_f32_e32 v1, v1
	v_mul_f32_e32 v1, 0x4f7ffffe, v1
	v_cvt_u32_f32_e32 v1, v1
	v_readfirstlane_b32 s2, v1
	s_mul_i32 s0, s0, s2
	s_mul_hi_u32 s0, s2, s0
	s_add_i32 s2, s2, s0
	s_mul_hi_u32 s0, s26, s2
	s_mul_i32 s0, s0, s33
	s_sub_i32 s0, s26, s0
	s_sub_i32 s2, s0, s33
	s_cmp_ge_u32 s0, s33
	s_cselect_b32 s0, s2, s0
	s_sub_i32 s2, s0, s33
	s_cmp_ge_u32 s0, s33
	s_cselect_b32 s0, s2, s0
	v_pk_mov_b32 v[20:21], s[0:1], s[0:1] op_sel:[0,1]
.LBB4_5:
	v_mov_b32_e32 v1, s27
	v_sub_co_u32_e32 v4, vcc, s26, v20
	v_subb_co_u32_e32 v5, vcc, v1, v21, vcc
	v_cmp_gt_i64_e32 vcc, 0, v[4:5]
	s_cbranch_vccnz .LBB4_43
; %bb.6:
	s_load_dwordx2 s[0:1], s[4:5], 0x20
	s_load_dwordx4 s[28:31], s[4:5], 0x0
	s_load_dwordx2 s[34:35], s[4:5], 0x80
	s_load_dwordx8 s[16:23], s[4:5], 0x50
	s_waitcnt vmcnt(0)
	v_lshlrev_b64 v[6:7], 3, v[6:7]
	s_waitcnt lgkmcnt(0)
	v_mov_b32_e32 v8, s1
	v_add_co_u32_e32 v1, vcc, s0, v6
	v_mad_u64_u32 v[16:17], s[0:1], v12, s12, 0
	v_mov_b32_e32 v6, v17
	v_addc_co_u32_e32 v56, vcc, v8, v7, vcc
	v_mad_u64_u32 v[6:7], s[0:1], v12, s13, v[6:7]
	v_mov_b32_e32 v17, v6
	v_lshlrev_b64 v[6:7], 1, v[14:15]
	v_add_co_u32_e32 v8, vcc, -1, v6
	v_addc_co_u32_e32 v9, vcc, -1, v7, vcc
	v_add_co_u32_e32 v10, vcc, -1, v2
	v_addc_co_u32_e32 v11, vcc, -1, v3, vcc
	v_mul_lo_u32 v13, v11, s10
	v_mul_lo_u32 v22, v10, s11
	v_mad_u64_u32 v[18:19], s[0:1], v10, s10, 0
	v_lshlrev_b64 v[16:17], 3, v[16:17]
	v_add3_u32 v19, v19, v22, v13
	v_mov_b32_e32 v13, s31
	v_add_co_u32_e32 v22, vcc, s30, v16
	v_addc_co_u32_e32 v13, vcc, v13, v17, vcc
	v_lshlrev_b64 v[18:19], 3, v[18:19]
	v_add_co_u32_e32 v36, vcc, v22, v18
	v_addc_co_u32_e32 v37, vcc, v13, v19, vcc
	v_alignbit_b32 v13, v9, v8, 1
	v_mul_lo_u32 v22, v13, s25
	v_mad_u64_u32 v[18:19], s[0:1], v13, s24, 0
	v_lshrrev_b32_e32 v13, 1, v9
	v_mul_lo_u32 v13, v13, s24
	v_add3_u32 v19, v19, v22, v13
	v_lshlrev_b64 v[18:19], 3, v[18:19]
	v_add_co_u32_e32 v18, vcc, v1, v18
	v_and_b32_e32 v0, 0x3ff, v0
	v_addc_co_u32_e32 v19, vcc, v56, v19, vcc
	v_mov_b32_e32 v13, s27
	v_add_co_u32_e32 v22, vcc, s26, v0
	v_addc_co_u32_e32 v13, vcc, 0, v13, vcc
	v_sub_co_u32_e32 v22, vcc, v22, v20
	v_subb_co_u32_e32 v23, vcc, v13, v21, vcc
	v_mul_lo_u32 v13, s21, v22
	v_mul_lo_u32 v24, s20, v23
	v_mad_u64_u32 v[20:21], s[0:1], s20, v22, 0
	v_add3_u32 v21, v21, v24, v13
	v_mul_lo_u32 v13, s19, v10
	v_mul_lo_u32 v26, s18, v11
	v_mad_u64_u32 v[24:25], s[0:1], s18, v10, 0
	v_add3_u32 v25, v25, v26, v13
	v_lshlrev_b64 v[20:21], 3, v[20:21]
	v_lshlrev_b64 v[24:25], 3, v[24:25]
	v_add_co_u32_e32 v27, vcc, v20, v24
	v_addc_co_u32_e32 v28, vcc, v21, v25, vcc
	v_mad_u64_u32 v[24:25], s[0:1], s16, v12, 0
	v_mov_b32_e32 v26, v25
	v_mad_u64_u32 v[12:13], s[0:1], s17, v12, v[26:27]
	v_mov_b32_e32 v25, v12
	v_lshlrev_b64 v[12:13], 3, v[24:25]
	v_add_co_u32_e32 v24, vcc, v27, v12
	v_addc_co_u32_e32 v25, vcc, v28, v13, vcc
	v_mov_b32_e32 v26, s29
	v_add_co_u32_e32 v24, vcc, s28, v24
	v_addc_co_u32_e32 v25, vcc, v26, v25, vcc
	s_mul_i32 s0, s21, s33
	s_mul_hi_u32 s1, s20, s33
	s_add_i32 s1, s1, s0
	s_mul_i32 s0, s20, s33
	v_sub_co_u32_e32 v26, vcc, v6, v0
	s_lshl_b64 s[0:1], s[0:1], 3
	v_subbrev_co_u32_e32 v27, vcc, 0, v7, vcc
	s_sub_u32 s80, 0, s0
	v_add_co_u32_e32 v28, vcc, -1, v26
	s_subb_u32 s81, 0, s1
	v_addc_co_u32_e32 v29, vcc, -1, v27, vcc
	v_pk_mov_b32 v[30:31], v[4:5], v[4:5] op_sel:[0,1]
	s_branch .LBB4_8
.LBB4_7:                                ;   in Loop: Header=BB4_8 Depth=1
	s_or_b64 exec, exec, s[0:1]
	v_subrev_co_u32_e32 v30, vcc, s33, v30
	v_subbrev_co_u32_e32 v31, vcc, 0, v31, vcc
	v_mov_b32_e32 v32, s81
	v_add_co_u32_e32 v24, vcc, s80, v24
	v_addc_co_u32_e32 v25, vcc, v25, v32, vcc
	v_cmp_gt_i64_e32 vcc, 0, v[30:31]
	s_cbranch_vccnz .LBB4_16
.LBB4_8:                                ; =>This Inner Loop Header: Depth=1
	v_cmp_ne_u64_e32 vcc, v[26:27], v[30:31]
	v_pk_mov_b32 v[32:33], s[34:35], s[34:35] op_sel:[0,1]
	s_mov_b64 s[2:3], -1
                                        ; implicit-def: $sgpr6_sgpr7
	s_and_saveexec_b64 s[0:1], vcc
	s_cbranch_execz .LBB4_12
; %bb.9:                                ;   in Loop: Header=BB4_8 Depth=1
	v_cmp_eq_u64_e32 vcc, v[28:29], v[30:31]
	s_mov_b64 s[2:3], 0
                                        ; implicit-def: $vgpr32_vgpr33
	s_and_saveexec_b64 s[6:7], vcc
	s_cbranch_execz .LBB4_11
; %bb.10:                               ;   in Loop: Header=BB4_8 Depth=1
	global_load_dwordx2 v[32:33], v[18:19], off
	s_mov_b64 s[2:3], exec
.LBB4_11:                               ;   in Loop: Header=BB4_8 Depth=1
	s_or_b64 exec, exec, s[6:7]
	s_mov_b32 s6, 0
	s_mov_b32 s7, 0xfff00000
	s_orn2_b64 s[2:3], s[2:3], exec
.LBB4_12:                               ;   in Loop: Header=BB4_8 Depth=1
	s_or_b64 exec, exec, s[0:1]
	v_pk_mov_b32 v[34:35], s[6:7], s[6:7] op_sel:[0,1]
	s_and_saveexec_b64 s[0:1], s[2:3]
	s_cbranch_execz .LBB4_14
; %bb.13:                               ;   in Loop: Header=BB4_8 Depth=1
	s_waitcnt vmcnt(0)
	v_mul_lo_u32 v34, v33, s14
	v_mul_lo_u32 v35, v32, s15
	v_mad_u64_u32 v[32:33], s[2:3], v32, s14, 0
	v_add3_u32 v33, v33, v35, v34
	v_lshlrev_b64 v[32:33], 3, v[32:33]
	v_add_co_u32_e32 v32, vcc, v36, v32
	v_addc_co_u32_e32 v33, vcc, v37, v33, vcc
	global_load_dwordx2 v[34:35], v[32:33], off
.LBB4_14:                               ;   in Loop: Header=BB4_8 Depth=1
	s_or_b64 exec, exec, s[0:1]
	s_waitcnt vmcnt(0)
	v_add_co_u32_e32 v32, vcc, v0, v30
	v_addc_co_u32_e32 v33, vcc, 0, v31, vcc
	v_cmp_ge_i64_e32 vcc, s[26:27], v[32:33]
	s_and_saveexec_b64 s[0:1], vcc
	s_cbranch_execz .LBB4_7
; %bb.15:                               ;   in Loop: Header=BB4_8 Depth=1
	global_store_dwordx2 v[24:25], v[34:35], off
	s_branch .LBB4_7
.LBB4_16:
	s_load_dwordx2 s[4:5], s[4:5], 0x18
	v_cmp_lt_i64_e64 s[0:1], 0, v[14:15]
	v_cmp_ne_u64_e64 s[2:3], 0, v[14:15]
	s_mov_b32 s22, 0xfefa39ef
	s_mov_b32 s36, 0x6a5dcb37
	s_waitcnt lgkmcnt(0)
	s_add_u32 s12, s4, -2
	s_addc_u32 s13, s5, -1
	s_mul_hi_u32 s6, s18, s12
	s_mul_i32 s7, s18, s13
	s_add_i32 s6, s6, s7
	s_mul_i32 s7, s19, s12
	s_add_i32 s7, s6, s7
	s_mul_i32 s6, s18, s12
	s_lshl_b64 s[6:7], s[6:7], 3
	s_add_u32 s6, s28, s6
	s_addc_u32 s7, s29, s7
	v_mov_b32_e32 v15, s7
	v_add_co_u32_e32 v14, vcc, s6, v20
	s_lshl_b64 s[6:7], s[18:19], 3
	s_sub_u32 s82, 0, s6
	s_subb_u32 s83, 0, s7
	s_mul_i32 s6, s10, s13
	s_mul_hi_u32 s7, s10, s12
	s_add_i32 s6, s7, s6
	s_mul_i32 s7, s11, s12
	s_add_i32 s7, s6, s7
	s_mul_i32 s6, s10, s12
	s_lshl_b64 s[6:7], s[6:7], 3
	s_add_u32 s6, s30, s6
	v_addc_co_u32_e32 v15, vcc, v15, v21, vcc
	s_addc_u32 s7, s31, s7
	v_mov_b32_e32 v18, s7
	v_add_co_u32_e32 v16, vcc, s6, v16
	s_lshl_b64 s[14:15], s[14:15], 3
	s_lshl_b64 s[6:7], s[10:11], 3
	s_sub_u32 s84, 0, s6
	s_subb_u32 s85, 0, s7
	v_cmp_gt_i64_e64 s[16:17], s[4:5], 1
	s_add_u32 s4, s4, -1
	s_addc_u32 s5, s5, -1
	s_mul_i32 s5, s18, s5
	s_mul_hi_u32 s6, s18, s4
	s_add_i32 s5, s6, s5
	s_mul_i32 s6, s19, s4
	s_add_i32 s5, s5, s6
	s_mul_i32 s4, s18, s4
	s_lshl_b64 s[4:5], s[4:5], 3
	v_addc_co_u32_e32 v17, vcc, v18, v17, vcc
	v_lshlrev_b64 v[18:19], 3, v[22:23]
	s_add_u32 s4, s28, s4
	v_add_co_u32_e32 v24, vcc, 8, v18
	s_addc_u32 s5, s29, s5
	v_addc_co_u32_e32 v25, vcc, 0, v19, vcc
	v_pk_mov_b32 v[18:19], s[4:5], s[4:5] op_sel:[0,1]
	v_mad_u64_u32 v[18:19], s[6:7], s20, v24, v[18:19]
	v_mul_lo_u32 v25, s20, v25
	v_mul_lo_u32 v24, s21, v24
	v_add3_u32 v19, v24, v19, v25
	v_mov_b32_e32 v24, s5
	v_add_co_u32_e32 v20, vcc, s4, v20
	v_addc_co_u32_e32 v21, vcc, v24, v21, vcc
	v_add_co_u32_e32 v22, vcc, 2, v22
	v_addc_co_u32_e32 v23, vcc, 0, v23, vcc
	v_mul_lo_u32 v24, s21, v22
	v_mul_lo_u32 v25, s20, v23
	v_mad_u64_u32 v[22:23], s[6:7], s20, v22, 0
	v_add3_u32 v23, v23, v25, v24
	v_lshlrev_b64 v[22:23], 3, v[22:23]
	v_mov_b32_e32 v24, s5
	v_add_co_u32_e32 v22, vcc, s4, v22
	s_mov_b32 s18, 0
	s_mov_b32 s20, 0x652b82fe
	;; [unrolled: 1-line block ×16, first 2 shown]
	v_addc_co_u32_e32 v23, vcc, v24, v23, vcc
	s_mov_b32 s19, 0xfff00000
	s_mov_b32 s21, 0x3ff71547
	s_mov_b32 s23, 0xbfe62e42
	s_mov_b32 s29, 0xbc7abc9e
	s_mov_b32 s31, 0x3e928af3
	s_mov_b32 s37, 0x3e5ade15
	s_mov_b32 s39, 0x3ec71dee
	s_mov_b32 s41, 0x3efa0199
	s_mov_b32 s43, 0x3f2a01a0
	s_mov_b32 s45, 0x3f56c16c
	s_mov_b32 s47, 0x3f811111
	s_mov_b32 s49, 0x3fa55555
	s_mov_b32 s51, 0x3fc55555
	s_mov_b32 s53, 0x3fe00000
	s_mov_b32 s55, 0x40900000
	s_mov_b32 s57, 0xc090cc00
	s_mov_b32 s59, 0x3fe55555
	s_mov_b32 s61, 0x3fc3ab76
	s_mov_b32 s63, 0x3fe62e42
	s_mov_b32 s65, 0x3c7abc9e
	s_movk_i32 s86, 0x204
	v_mov_b32_e32 v24, 0
	v_mov_b32_e32 v57, 0x7ff00000
	;; [unrolled: 1-line block ×14, first 2 shown]
	s_branch .LBB4_18
.LBB4_17:                               ;   in Loop: Header=BB4_18 Depth=1
	v_subrev_co_u32_e32 v4, vcc, s33, v4
	v_subbrev_co_u32_e32 v5, vcc, 0, v5, vcc
	v_mov_b32_e32 v25, s81
	v_add_co_u32_e32 v14, vcc, s80, v14
	v_addc_co_u32_e32 v15, vcc, v15, v25, vcc
	v_add_co_u32_e32 v18, vcc, s80, v18
	v_addc_co_u32_e32 v19, vcc, v19, v25, vcc
	;; [unrolled: 2-line block ×4, first 2 shown]
	v_cmp_gt_i64_e32 vcc, 0, v[4:5]
	s_cbranch_vccnz .LBB4_43
.LBB4_18:                               ; =>This Loop Header: Depth=1
                                        ;     Child Loop BB4_29 Depth 2
	v_add_co_u32_e32 v38, vcc, v4, v0
	v_addc_co_u32_e32 v39, vcc, 0, v5, vcc
	v_cmp_le_i64_e64 s[4:5], v[38:39], v[6:7]
	s_and_b64 s[6:7], s[0:1], s[4:5]
	s_waitcnt vmcnt(0)
	v_pk_mov_b32 v[40:41], s[34:35], s[34:35] op_sel:[0,1]
	s_mov_b64 s[66:67], 0
	s_and_saveexec_b64 s[8:9], s[6:7]
	s_cbranch_execz .LBB4_26
; %bb.19:                               ;   in Loop: Header=BB4_18 Depth=1
	v_and_b32_e32 v25, 1, v38
	v_cmp_eq_u32_e32 vcc, 1, v25
	v_pk_mov_b32 v[40:41], s[34:35], s[34:35] op_sel:[0,1]
	s_and_saveexec_b64 s[10:11], vcc
	s_cbranch_execz .LBB4_21
; %bb.20:                               ;   in Loop: Header=BB4_18 Depth=1
	v_alignbit_b32 v25, v39, v38, 1
	v_mul_lo_u32 v42, v25, s25
	v_mad_u64_u32 v[40:41], s[6:7], v25, s24, 0
	v_lshrrev_b32_e32 v25, 1, v39
	v_mul_lo_u32 v25, v25, s24
	v_add3_u32 v41, v41, v42, v25
	v_lshlrev_b64 v[40:41], 3, v[40:41]
	v_add_co_u32_e64 v40, s[6:7], v1, v40
	v_addc_co_u32_e64 v41, s[6:7], v56, v41, s[6:7]
	global_load_dwordx2 v[40:41], v[40:41], off
.LBB4_21:                               ;   in Loop: Header=BB4_18 Depth=1
	s_or_b64 exec, exec, s[10:11]
	v_cmp_lt_i64_e64 s[6:7], v[38:39], v[8:9]
	s_and_saveexec_b64 s[10:11], s[6:7]
	s_cbranch_execz .LBB4_25
; %bb.22:                               ;   in Loop: Header=BB4_18 Depth=1
	v_pk_mov_b32 v[42:43], s[34:35], s[34:35] op_sel:[0,1]
	s_and_saveexec_b64 s[6:7], vcc
	s_cbranch_execz .LBB4_24
; %bb.23:                               ;   in Loop: Header=BB4_18 Depth=1
	v_add_co_u32_e32 v25, vcc, 2, v38
	v_addc_co_u32_e32 v44, vcc, 0, v39, vcc
	v_alignbit_b32 v25, v44, v25, 1
	v_mul_lo_u32 v45, v25, s25
	v_mad_u64_u32 v[42:43], s[66:67], v25, s24, 0
	v_lshrrev_b32_e32 v25, 1, v44
	v_mul_lo_u32 v25, v25, s24
	v_add3_u32 v43, v43, v45, v25
	v_lshlrev_b64 v[42:43], 3, v[42:43]
	v_add_co_u32_e32 v42, vcc, v1, v42
	v_addc_co_u32_e32 v43, vcc, v56, v43, vcc
	global_load_dwordx2 v[42:43], v[42:43], off
.LBB4_24:                               ;   in Loop: Header=BB4_18 Depth=1
	s_or_b64 exec, exec, s[6:7]
	s_waitcnt vmcnt(0)
	v_cmp_ne_u64_e32 vcc, v[42:43], v[40:41]
	s_and_b64 s[66:67], vcc, exec
.LBB4_25:                               ;   in Loop: Header=BB4_18 Depth=1
	s_or_b64 exec, exec, s[10:11]
	s_and_b64 s[66:67], s[66:67], exec
.LBB4_26:                               ;   in Loop: Header=BB4_18 Depth=1
	s_or_b64 exec, exec, s[8:9]
	s_andn2_b64 vcc, exec, s[16:17]
	s_cbranch_vccnz .LBB4_17
; %bb.27:                               ;   in Loop: Header=BB4_18 Depth=1
	v_cmp_gt_i64_e64 s[6:7], 1, v[38:39]
	v_cmp_lt_i64_e32 vcc, s[26:27], v[38:39]
	s_or_b64 s[68:69], s[2:3], s[6:7]
	v_cmp_lt_i64_e64 s[6:7], v[38:39], v[6:7]
	s_waitcnt vmcnt(0)
	v_mad_u64_u32 v[38:39], s[8:9], s14, v40, v[16:17]
	v_mul_lo_u32 v25, s14, v41
	v_mul_lo_u32 v40, s15, v40
	v_add3_u32 v39, v40, v39, v25
	s_xor_b64 s[70:71], s[4:5], -1
	v_pk_mov_b32 v[40:41], v[22:23], v[22:23] op_sel:[0,1]
	v_pk_mov_b32 v[42:43], v[20:21], v[20:21] op_sel:[0,1]
	v_pk_mov_b32 v[44:45], v[18:19], v[18:19] op_sel:[0,1]
	v_pk_mov_b32 v[46:47], v[14:15], v[14:15] op_sel:[0,1]
	s_mov_b64 s[72:73], s[12:13]
	s_branch .LBB4_29
.LBB4_28:                               ;   in Loop: Header=BB4_29 Depth=2
	s_or_b64 exec, exec, s[10:11]
	v_mov_b32_e32 v25, s83
	v_add_co_u32_e64 v46, s[8:9], s82, v46
	v_addc_co_u32_e64 v47, s[8:9], v47, v25, s[8:9]
	v_mov_b32_e32 v25, s85
	v_add_co_u32_e64 v38, s[8:9], s84, v38
	v_addc_co_u32_e64 v39, s[8:9], v39, v25, s[8:9]
	;; [unrolled: 3-line block ×3, first 2 shown]
	v_add_co_u32_e64 v42, s[8:9], s82, v42
	s_add_u32 s72, s72, -1
	v_addc_co_u32_e64 v43, s[8:9], v43, v25, s[8:9]
	s_addc_u32 s73, s73, -1
	v_add_co_u32_e64 v40, s[8:9], s82, v40
	s_cmp_eq_u64 s[72:73], -1
	v_addc_co_u32_e64 v41, s[8:9], v41, v25, s[8:9]
	s_cbranch_scc1 .LBB4_17
.LBB4_29:                               ;   Parent Loop BB4_18 Depth=1
                                        ; =>  This Inner Loop Header: Depth=2
	v_cmp_ge_i64_e64 s[8:9], s[72:73], v[10:11]
	s_or_b64 s[10:11], s[70:71], s[8:9]
	s_mov_b64 s[74:75], 0
	s_barrier
	s_waitcnt lgkmcnt(0)
                                        ; implicit-def: $sgpr8_sgpr9
	s_and_saveexec_b64 s[76:77], s[10:11]
	s_xor_b64 s[10:11], exec, s[76:77]
	s_cbranch_execnz .LBB4_32
; %bb.30:                               ;   in Loop: Header=BB4_29 Depth=2
	s_or_saveexec_b64 s[76:77], s[10:11]
	v_pk_mov_b32 v[48:49], s[8:9], s[8:9] op_sel:[0,1]
	s_xor_b64 exec, exec, s[76:77]
	s_cbranch_execnz .LBB4_33
.LBB4_31:                               ;   in Loop: Header=BB4_29 Depth=2
	s_or_b64 exec, exec, s[76:77]
	s_and_saveexec_b64 s[10:11], s[74:75]
	s_cbranch_execz .LBB4_28
	s_branch .LBB4_42
.LBB4_32:                               ;   in Loop: Header=BB4_29 Depth=2
	v_cmp_lt_i64_e64 s[8:9], s[72:73], v[2:3]
	s_and_b64 s[8:9], s[68:69], s[8:9]
	s_and_b64 s[8:9], s[8:9], s[4:5]
	s_or_b64 s[8:9], vcc, s[8:9]
	s_xor_b64 s[74:75], s[8:9], -1
	s_mov_b32 s8, 0
	s_mov_b32 s9, 0xfff00000
	s_and_b64 s[74:75], s[74:75], exec
	s_or_saveexec_b64 s[76:77], s[10:11]
	v_pk_mov_b32 v[48:49], s[8:9], s[8:9] op_sel:[0,1]
	s_xor_b64 exec, exec, s[76:77]
	s_cbranch_execz .LBB4_31
.LBB4_33:                               ;   in Loop: Header=BB4_29 Depth=2
	v_add_co_u32_e64 v48, s[8:9], v42, v12
	v_addc_co_u32_e64 v49, s[8:9], v43, v13, s[8:9]
	global_load_dwordx2 v[54:55], v[48:49], off
	v_mov_b32_e32 v50, 0
	v_mov_b32_e32 v51, 0xfff00000
	v_pk_mov_b32 v[52:53], v[50:51], v[50:51] op_sel:[0,1]
	s_waitcnt vmcnt(0)
	v_pk_mov_b32 v[48:49], v[54:55], v[54:55] op_sel:[0,1]
	s_and_saveexec_b64 s[10:11], s[6:7]
	s_cbranch_execz .LBB4_37
; %bb.34:                               ;   in Loop: Header=BB4_29 Depth=2
	v_add_co_u32_e64 v48, s[8:9], v44, v12
	v_addc_co_u32_e64 v49, s[8:9], v45, v13, s[8:9]
	global_load_dwordx2 v[52:53], v[48:49], off
	v_pk_mov_b32 v[48:49], v[54:55], v[54:55] op_sel:[0,1]
	s_waitcnt vmcnt(0)
	v_cmp_gt_f64_e64 s[8:9], v[52:53], v[54:55]
	s_and_saveexec_b64 s[78:79], s[8:9]
; %bb.35:                               ;   in Loop: Header=BB4_29 Depth=2
	v_pk_mov_b32 v[48:49], v[52:53], v[52:53] op_sel:[0,1]
; %bb.36:                               ;   in Loop: Header=BB4_29 Depth=2
	s_or_b64 exec, exec, s[78:79]
.LBB4_37:                               ;   in Loop: Header=BB4_29 Depth=2
	s_or_b64 exec, exec, s[10:11]
	s_and_saveexec_b64 s[10:11], s[66:67]
	s_cbranch_execz .LBB4_41
; %bb.38:                               ;   in Loop: Header=BB4_29 Depth=2
	v_add_co_u32_e64 v50, s[8:9], v40, v12
	v_addc_co_u32_e64 v51, s[8:9], v41, v13, s[8:9]
	global_load_dwordx2 v[50:51], v[50:51], off
	s_waitcnt vmcnt(0)
	v_cmp_gt_f64_e64 s[8:9], v[50:51], v[48:49]
	s_and_saveexec_b64 s[78:79], s[8:9]
; %bb.39:                               ;   in Loop: Header=BB4_29 Depth=2
	v_pk_mov_b32 v[48:49], v[50:51], v[50:51] op_sel:[0,1]
; %bb.40:                               ;   in Loop: Header=BB4_29 Depth=2
	s_or_b64 exec, exec, s[78:79]
.LBB4_41:                               ;   in Loop: Header=BB4_29 Depth=2
	s_or_b64 exec, exec, s[10:11]
	v_cmp_neq_f64_e64 s[8:9], s[18:19], v[48:49]
	v_cndmask_b32_e64 v49, 0, v49, s[8:9]
	v_cndmask_b32_e64 v48, 0, v48, s[8:9]
	v_add_f64 v[54:55], v[54:55], -v[48:49]
	v_mul_f64 v[58:59], v[54:55], s[20:21]
	v_rndne_f64_e32 v[58:59], v[58:59]
	v_fma_f64 v[60:61], s[22:23], v[58:59], v[54:55]
	v_fmac_f64_e32 v[60:61], s[28:29], v[58:59]
	v_pk_mov_b32 v[62:63], s[30:31], s[30:31] op_sel:[0,1]
	v_fma_f64 v[64:65], s[36:37], v[60:61], v[62:63]
	v_fma_f64 v[64:65], v[60:61], v[64:65], s[38:39]
	;; [unrolled: 1-line block ×9, first 2 shown]
	v_fma_f64 v[64:65], v[60:61], v[64:65], 1.0
	v_fma_f64 v[60:61], v[60:61], v[64:65], 1.0
	v_cvt_i32_f64_e32 v25, v[58:59]
	v_ldexp_f64 v[58:59], v[60:61], v25
	v_cmp_nlt_f64_e64 s[8:9], s[54:55], v[54:55]
	v_cmp_ngt_f64_e64 s[10:11], s[56:57], v[54:55]
	v_cndmask_b32_e64 v25, v57, v59, s[8:9]
	s_and_b64 s[8:9], s[10:11], s[8:9]
	v_add_f64 v[52:53], v[52:53], -v[48:49]
	v_cndmask_b32_e64 v54, 0, v58, s[8:9]
	v_mul_f64 v[58:59], v[52:53], s[20:21]
	v_rndne_f64_e32 v[58:59], v[58:59]
	v_fma_f64 v[60:61], s[22:23], v[58:59], v[52:53]
	v_fmac_f64_e32 v[60:61], s[28:29], v[58:59]
	v_fma_f64 v[64:65], s[36:37], v[60:61], v[62:63]
	v_fma_f64 v[64:65], v[60:61], v[64:65], s[38:39]
	;; [unrolled: 1-line block ×9, first 2 shown]
	v_fma_f64 v[64:65], v[60:61], v[64:65], 1.0
	v_cndmask_b32_e64 v55, 0, v25, s[10:11]
	v_fma_f64 v[60:61], v[60:61], v[64:65], 1.0
	v_cvt_i32_f64_e32 v25, v[58:59]
	v_ldexp_f64 v[58:59], v[60:61], v25
	v_cmp_nlt_f64_e64 s[8:9], s[54:55], v[52:53]
	v_cmp_ngt_f64_e64 s[10:11], s[56:57], v[52:53]
	v_cndmask_b32_e64 v25, v57, v59, s[8:9]
	s_and_b64 s[8:9], s[10:11], s[8:9]
	v_cndmask_b32_e64 v53, 0, v25, s[10:11]
	v_cndmask_b32_e64 v52, 0, v58, s[8:9]
	v_add_f64 v[50:51], v[50:51], -v[48:49]
	v_add_f64 v[52:53], v[54:55], v[52:53]
	v_mul_f64 v[54:55], v[50:51], s[20:21]
	v_rndne_f64_e32 v[54:55], v[54:55]
	v_fma_f64 v[58:59], s[22:23], v[54:55], v[50:51]
	v_fmac_f64_e32 v[58:59], s[28:29], v[54:55]
	v_fmac_f64_e32 v[62:63], s[36:37], v[58:59]
	v_fma_f64 v[60:61], v[58:59], v[62:63], s[38:39]
	v_fma_f64 v[60:61], v[58:59], v[60:61], s[40:41]
	;; [unrolled: 1-line block ×8, first 2 shown]
	v_fma_f64 v[60:61], v[58:59], v[60:61], 1.0
	v_fma_f64 v[58:59], v[58:59], v[60:61], 1.0
	v_cvt_i32_f64_e32 v25, v[54:55]
	v_ldexp_f64 v[54:55], v[58:59], v25
	v_cmp_nlt_f64_e64 s[8:9], s[54:55], v[50:51]
	v_cmp_ngt_f64_e64 s[10:11], s[56:57], v[50:51]
	v_cndmask_b32_e64 v25, v57, v55, s[8:9]
	s_and_b64 s[8:9], s[10:11], s[8:9]
	v_cndmask_b32_e64 v51, 0, v25, s[10:11]
	v_cndmask_b32_e64 v50, 0, v54, s[8:9]
	v_add_f64 v[50:51], v[50:51], v[52:53]
	v_frexp_mant_f64_e32 v[52:53], v[50:51]
	v_mov_b32_e32 v25, 0x3ff00000
	v_cmp_gt_f64_e64 s[8:9], s[58:59], v[52:53]
	v_cndmask_b32_e64 v25, v25, 2.0, s[8:9]
	v_frexp_exp_i32_f64_e32 v54, v[50:51]
	v_mul_f64 v[52:53], v[52:53], v[24:25]
	v_subbrev_co_u32_e64 v25, s[8:9], 0, v54, s[8:9]
	v_add_f64 v[54:55], v[52:53], 1.0
	v_rcp_f64_e32 v[58:59], v[54:55]
	v_add_f64 v[62:63], v[54:55], -1.0
	v_add_f64 v[60:61], v[52:53], -1.0
	v_add_f64 v[52:53], v[52:53], -v[62:63]
	v_fma_f64 v[62:63], -v[54:55], v[58:59], 1.0
	v_fmac_f64_e32 v[58:59], v[62:63], v[58:59]
	global_load_dwordx2 v[62:63], v[38:39], off
	v_fma_f64 v[64:65], -v[54:55], v[58:59], 1.0
	v_fmac_f64_e32 v[58:59], v[64:65], v[58:59]
	v_mul_f64 v[64:65], v[60:61], v[58:59]
	v_mul_f64 v[66:67], v[54:55], v[64:65]
	v_fma_f64 v[54:55], v[64:65], v[54:55], -v[66:67]
	v_fmac_f64_e32 v[54:55], v[64:65], v[52:53]
	v_add_f64 v[52:53], v[66:67], v[54:55]
	v_add_f64 v[68:69], v[60:61], -v[52:53]
	v_add_f64 v[66:67], v[52:53], -v[66:67]
	;; [unrolled: 1-line block ×5, first 2 shown]
	v_add_f64 v[52:53], v[54:55], v[52:53]
	v_add_f64 v[52:53], v[68:69], v[52:53]
	v_mul_f64 v[52:53], v[58:59], v[52:53]
	v_add_f64 v[54:55], v[64:65], v[52:53]
	v_add_f64 v[58:59], v[54:55], -v[64:65]
	v_add_f64 v[52:53], v[52:53], -v[58:59]
	v_mul_f64 v[58:59], v[54:55], v[54:55]
	v_pk_mov_b32 v[60:61], v[26:27], v[26:27] op_sel:[0,1]
	v_fmac_f64_e32 v[60:61], s[60:61], v[58:59]
	v_pk_mov_b32 v[64:65], v[28:29], v[28:29] op_sel:[0,1]
	v_fmac_f64_e32 v[64:65], v[58:59], v[60:61]
	;; [unrolled: 2-line block ×6, first 2 shown]
	v_ldexp_f64 v[60:61], v[54:55], 1
	v_mul_f64 v[54:55], v[54:55], v[58:59]
	v_mul_f64 v[54:55], v[54:55], v[64:65]
	v_add_f64 v[58:59], v[60:61], v[54:55]
	v_add_f64 v[60:61], v[58:59], -v[60:61]
	v_ldexp_f64 v[52:53], v[52:53], 1
	v_add_f64 v[54:55], v[54:55], -v[60:61]
	v_add_f64 v[52:53], v[52:53], v[54:55]
	v_add_f64 v[54:55], v[58:59], v[52:53]
	v_add_f64 v[58:59], v[54:55], -v[58:59]
	v_add_f64 v[52:53], v[52:53], -v[58:59]
	v_cvt_f64_i32_e32 v[58:59], v25
	s_mov_b32 s62, s22
	v_mul_f64 v[60:61], v[58:59], s[62:63]
	v_fma_f64 v[64:65], v[58:59], s[62:63], -v[60:61]
	s_mov_b32 s64, s28
	v_fmac_f64_e32 v[64:65], s[64:65], v[58:59]
	v_add_f64 v[58:59], v[60:61], v[64:65]
	v_add_f64 v[60:61], v[58:59], -v[60:61]
	v_add_f64 v[60:61], v[64:65], -v[60:61]
	v_add_f64 v[64:65], v[58:59], v[54:55]
	v_add_f64 v[66:67], v[64:65], -v[58:59]
	v_add_f64 v[68:69], v[64:65], -v[66:67]
	;; [unrolled: 1-line block ×4, first 2 shown]
	v_add_f64 v[54:55], v[54:55], v[58:59]
	v_add_f64 v[58:59], v[60:61], v[52:53]
	v_add_f64 v[66:67], v[58:59], -v[60:61]
	v_add_f64 v[68:69], v[58:59], -v[66:67]
	v_add_f64 v[54:55], v[58:59], v[54:55]
	v_add_f64 v[60:61], v[60:61], -v[68:69]
	v_add_f64 v[52:53], v[52:53], -v[66:67]
	v_add_f64 v[58:59], v[64:65], v[54:55]
	v_add_f64 v[52:53], v[52:53], v[60:61]
	v_add_f64 v[60:61], v[58:59], -v[64:65]
	v_add_f64 v[54:55], v[54:55], -v[60:61]
	v_add_f64 v[52:53], v[52:53], v[54:55]
	v_add_f64 v[52:53], v[58:59], v[52:53]
	v_cmp_class_f64_e64 s[8:9], v[50:51], s86
	v_cndmask_b32_e64 v25, v52, v50, s[8:9]
	v_cndmask_b32_e64 v52, v53, v51, s[8:9]
	v_mov_b32_e32 v53, 0x7ff80000
	v_cmp_ngt_f64_e64 s[8:9], 0, v[50:51]
	v_cndmask_b32_e64 v53, v53, v52, s[8:9]
	v_cmp_nge_f64_e64 s[8:9], 0, v[50:51]
	v_cndmask_b32_e64 v52, 0, v25, s[8:9]
	v_mov_b32_e32 v25, 0xfff00000
	v_cmp_neq_f64_e64 s[8:9], 0, v[50:51]
	v_cndmask_b32_e64 v53, v25, v53, s[8:9]
	v_add_f64 v[48:49], v[48:49], v[52:53]
	s_waitcnt vmcnt(0)
	v_add_f64 v[48:49], v[62:63], v[48:49]
	s_or_b64 s[74:75], s[74:75], exec
	s_or_b64 exec, exec, s[76:77]
	s_and_saveexec_b64 s[10:11], s[74:75]
	s_cbranch_execz .LBB4_28
.LBB4_42:                               ;   in Loop: Header=BB4_29 Depth=2
	v_add_co_u32_e64 v50, s[8:9], v46, v12
	v_addc_co_u32_e64 v51, s[8:9], v47, v13, s[8:9]
	global_store_dwordx2 v[50:51], v[48:49], off
	s_branch .LBB4_28
.LBB4_43:
	s_endpgm
.LBB4_44:
                                        ; implicit-def: $vgpr20_vgpr21
	s_branch .LBB4_4
	.section	.rodata,"a",@progbits
	.p2align	6, 0x0
	.amdhsa_kernel _ZN2at6native12_GLOBAL__N_137ctc_loss_backward_log_beta_gpu_kernelIdlEEvPT_PKS3_PKllPKT0_S8_lllllllS8_lll
		.amdhsa_group_segment_fixed_size 0
		.amdhsa_private_segment_fixed_size 0
		.amdhsa_kernarg_size 392
		.amdhsa_user_sgpr_count 6
		.amdhsa_user_sgpr_private_segment_buffer 1
		.amdhsa_user_sgpr_dispatch_ptr 0
		.amdhsa_user_sgpr_queue_ptr 0
		.amdhsa_user_sgpr_kernarg_segment_ptr 1
		.amdhsa_user_sgpr_dispatch_id 0
		.amdhsa_user_sgpr_flat_scratch_init 0
		.amdhsa_user_sgpr_kernarg_preload_length 0
		.amdhsa_user_sgpr_kernarg_preload_offset 0
		.amdhsa_user_sgpr_private_segment_size 0
		.amdhsa_uses_dynamic_stack 0
		.amdhsa_system_sgpr_private_segment_wavefront_offset 0
		.amdhsa_system_sgpr_workgroup_id_x 1
		.amdhsa_system_sgpr_workgroup_id_y 1
		.amdhsa_system_sgpr_workgroup_id_z 0
		.amdhsa_system_sgpr_workgroup_info 0
		.amdhsa_system_vgpr_workitem_id 1
		.amdhsa_next_free_vgpr 70
		.amdhsa_next_free_sgpr 87
		.amdhsa_accum_offset 72
		.amdhsa_reserve_vcc 1
		.amdhsa_reserve_flat_scratch 0
		.amdhsa_float_round_mode_32 0
		.amdhsa_float_round_mode_16_64 0
		.amdhsa_float_denorm_mode_32 3
		.amdhsa_float_denorm_mode_16_64 3
		.amdhsa_dx10_clamp 1
		.amdhsa_ieee_mode 1
		.amdhsa_fp16_overflow 0
		.amdhsa_tg_split 0
		.amdhsa_exception_fp_ieee_invalid_op 0
		.amdhsa_exception_fp_denorm_src 0
		.amdhsa_exception_fp_ieee_div_zero 0
		.amdhsa_exception_fp_ieee_overflow 0
		.amdhsa_exception_fp_ieee_underflow 0
		.amdhsa_exception_fp_ieee_inexact 0
		.amdhsa_exception_int_div_zero 0
	.end_amdhsa_kernel
	.section	.text._ZN2at6native12_GLOBAL__N_137ctc_loss_backward_log_beta_gpu_kernelIdlEEvPT_PKS3_PKllPKT0_S8_lllllllS8_lll,"axG",@progbits,_ZN2at6native12_GLOBAL__N_137ctc_loss_backward_log_beta_gpu_kernelIdlEEvPT_PKS3_PKllPKT0_S8_lllllllS8_lll,comdat
.Lfunc_end4:
	.size	_ZN2at6native12_GLOBAL__N_137ctc_loss_backward_log_beta_gpu_kernelIdlEEvPT_PKS3_PKllPKT0_S8_lllllllS8_lll, .Lfunc_end4-_ZN2at6native12_GLOBAL__N_137ctc_loss_backward_log_beta_gpu_kernelIdlEEvPT_PKS3_PKllPKT0_S8_lllllllS8_lll
                                        ; -- End function
	.section	.AMDGPU.csdata,"",@progbits
; Kernel info:
; codeLenInByte = 4508
; NumSgprs: 91
; NumVgprs: 70
; NumAgprs: 0
; TotalNumVgprs: 70
; ScratchSize: 0
; MemoryBound: 0
; FloatMode: 240
; IeeeMode: 1
; LDSByteSize: 0 bytes/workgroup (compile time only)
; SGPRBlocks: 11
; VGPRBlocks: 8
; NumSGPRsForWavesPerEU: 91
; NumVGPRsForWavesPerEU: 70
; AccumOffset: 72
; Occupancy: 7
; WaveLimiterHint : 1
; COMPUTE_PGM_RSRC2:SCRATCH_EN: 0
; COMPUTE_PGM_RSRC2:USER_SGPR: 6
; COMPUTE_PGM_RSRC2:TRAP_HANDLER: 0
; COMPUTE_PGM_RSRC2:TGID_X_EN: 1
; COMPUTE_PGM_RSRC2:TGID_Y_EN: 1
; COMPUTE_PGM_RSRC2:TGID_Z_EN: 0
; COMPUTE_PGM_RSRC2:TIDIG_COMP_CNT: 1
; COMPUTE_PGM_RSRC3_GFX90A:ACCUM_OFFSET: 17
; COMPUTE_PGM_RSRC3_GFX90A:TG_SPLIT: 0
	.section	.text._ZN2at6native12_GLOBAL__N_145ctc_loss_backward_collect_nonblank_gpu_kernelIdlEEvPT_PKS3_lS6_S6_S6_PKlPKT0_S8_S6_llllllllllllS8_llb,"axG",@progbits,_ZN2at6native12_GLOBAL__N_145ctc_loss_backward_collect_nonblank_gpu_kernelIdlEEvPT_PKS3_lS6_S6_S6_PKlPKT0_S8_S6_llllllllllllS8_llb,comdat
	.globl	_ZN2at6native12_GLOBAL__N_145ctc_loss_backward_collect_nonblank_gpu_kernelIdlEEvPT_PKS3_lS6_S6_S6_PKlPKT0_S8_S6_llllllllllllS8_llb ; -- Begin function _ZN2at6native12_GLOBAL__N_145ctc_loss_backward_collect_nonblank_gpu_kernelIdlEEvPT_PKS3_lS6_S6_S6_PKlPKT0_S8_S6_llllllllllllS8_llb
	.p2align	8
	.type	_ZN2at6native12_GLOBAL__N_145ctc_loss_backward_collect_nonblank_gpu_kernelIdlEEvPT_PKS3_lS6_S6_S6_PKlPKT0_S8_S6_llllllllllllS8_llb,@function
_ZN2at6native12_GLOBAL__N_145ctc_loss_backward_collect_nonblank_gpu_kernelIdlEEvPT_PKS3_lS6_S6_S6_PKlPKT0_S8_S6_llllllllllllS8_llb: ; @_ZN2at6native12_GLOBAL__N_145ctc_loss_backward_collect_nonblank_gpu_kernelIdlEEvPT_PKS3_lS6_S6_S6_PKlPKT0_S8_S6_llllllllllllS8_llb
; %bb.0:
	s_load_dword s0, s[4:5], 0xdc
	s_load_dwordx4 s[44:47], s[4:5], 0xb8
	v_bfe_u32 v1, v0, 10, 10
	v_mov_b32_e32 v5, 0
	s_waitcnt lgkmcnt(0)
	s_lshr_b32 s1, s0, 16
	s_mul_i32 s7, s7, s1
	v_add_u32_e32 v4, s7, v1
	v_cmp_gt_i64_e32 vcc, s[46:47], v[4:5]
	s_and_saveexec_b64 s[2:3], vcc
	s_cbranch_execz .LBB5_5
; %bb.1:
	s_load_dwordx2 s[2:3], s[4:5], 0x40
	v_lshlrev_b64 v[8:9], 3, v[4:5]
	v_and_b32_e32 v0, 0x3ff, v0
	s_and_b32 s0, s0, 0xffff
	s_waitcnt lgkmcnt(0)
	v_mov_b32_e32 v1, s3
	v_add_co_u32_e32 v2, vcc, s2, v8
	v_addc_co_u32_e32 v3, vcc, v1, v9, vcc
	global_load_dwordx2 v[2:3], v[2:3], off
	v_mov_b32_e32 v1, v5
	v_mov_b32_e32 v5, s6
	v_mad_u64_u32 v[6:7], s[0:1], s0, v5, v[0:1]
	s_waitcnt vmcnt(0)
	v_cmp_lt_i64_e32 vcc, v[6:7], v[2:3]
	s_and_b64 exec, exec, vcc
	s_cbranch_execz .LBB5_5
; %bb.2:
	s_load_dword s8, s[4:5], 0xc8
	s_load_dwordx2 s[0:1], s[4:5], 0x30
	s_load_dwordx2 s[2:3], s[4:5], 0x48
	s_mov_b64 s[6:7], 0
	s_waitcnt lgkmcnt(0)
	s_bitcmp1_b32 s8, 0
	v_mov_b32_e32 v3, s1
	v_mov_b32_e32 v1, s3
	v_add_co_u32_e32 v0, vcc, s2, v8
	v_addc_co_u32_e32 v1, vcc, v1, v9, vcc
	v_add_co_u32_e32 v2, vcc, s0, v8
	global_load_dwordx2 v[0:1], v[0:1], off
	v_addc_co_u32_e32 v3, vcc, v3, v9, vcc
	global_load_dwordx2 v[2:3], v[2:3], off
	s_mov_b32 s0, 0
	s_mov_b32 s1, 0x7ff00000
	s_cselect_b64 s[2:3], -1, 0
	s_xor_b64 s[2:3], s[2:3], -1
	s_waitcnt vmcnt(1)
	v_cmp_neq_f64_e32 vcc, s[0:1], v[0:1]
	s_or_b64 s[0:1], s[2:3], vcc
	s_waitcnt vmcnt(0)
	v_cmp_lt_i64_e32 vcc, 0, v[2:3]
	s_and_b64 s[0:1], s[0:1], vcc
	s_and_b64 exec, exec, s[0:1]
	s_cbranch_execz .LBB5_5
; %bb.3:
	s_load_dwordx2 s[0:1], s[4:5], 0xb0
	v_mul_lo_u32 v30, v6, s45
	v_lshlrev_b64 v[28:29], 1, v[6:7]
	s_mov_b32 s34, 0xfefa39ef
	s_mov_b32 s46, 0x6a5dcb37
	s_waitcnt lgkmcnt(0)
	v_mov_b32_e32 v5, s1
	v_add_co_u32_e32 v8, vcc, s0, v8
	v_addc_co_u32_e32 v9, vcc, v5, v9, vcc
	global_load_dwordx2 v[24:25], v[8:9], off
	s_load_dwordx8 s[24:31], s[4:5], 0x0
	s_load_dwordx4 s[0:3], s[4:5], 0x20
	s_load_dwordx2 s[52:53], s[4:5], 0x38
	s_load_dwordx16 s[8:23], s[4:5], 0x50
	s_load_dwordx8 s[36:43], s[4:5], 0x90
	v_mul_lo_u32 v5, v7, s44
	v_mad_u64_u32 v[26:27], s[4:5], v6, s44, 0
	v_add3_u32 v27, v27, v30, v5
	s_waitcnt lgkmcnt(0)
	v_mov_b32_e32 v33, s53
	v_lshlrev_b64 v[26:27], 3, v[26:27]
	v_mad_u64_u32 v[30:31], s[54:55], v4, s28, 0
	v_or_b32_e32 v5, 1, v28
	v_mov_b32_e32 v28, s27
	v_mad_u64_u32 v[34:35], s[54:55], v4, s10, 0
	v_mul_lo_u32 v45, v29, s36
	v_mul_lo_u32 v47, v5, s37
	v_mad_u64_u32 v[42:43], s[36:37], v5, s36, 0
	v_mul_lo_u32 v51, v5, s43
	v_mov_b32_e32 v49, s25
	v_add3_u32 v43, v43, v47, v45
	v_mov_b32_e32 v50, s31
	v_mov_b32_e32 v52, s1
	v_lshlrev_b64 v[42:43], 3, v[42:43]
	s_mov_b32 s4, 0x652b82fe
	s_mov_b32 s44, 0x3b39803f
	s_mov_b32 s48, 0
	s_mov_b32 s50, 0
	s_mov_b32 s5, 0x3ff71547
	s_mov_b32 s35, 0xbfe62e42
	s_mov_b32 s45, 0xbc7abc9e
	s_mov_b32 s47, 0x3e5ade15
	s_mov_b32 s49, 0x40900000
	s_mov_b32 s51, 0xc090cc00
	v_mov_b32_e32 v6, 0xfca7ab0c
	v_mov_b32_e32 v7, 0x3e928af3
	;; [unrolled: 1-line block ×19, first 2 shown]
	s_lshl_b64 s[22:23], s[22:23], 3
	s_lshl_b64 s[8:9], s[8:9], 3
	;; [unrolled: 1-line block ×3, first 2 shown]
	s_waitcnt vmcnt(0)
	v_lshlrev_b64 v[24:25], 3, v[24:25]
	v_add_co_u32_e32 v24, vcc, s52, v24
	v_addc_co_u32_e32 v25, vcc, v33, v25, vcc
	v_add_co_u32_e32 v24, vcc, v24, v26
	v_addc_co_u32_e32 v25, vcc, v25, v27, vcc
	global_load_dwordx2 v[36:37], v[24:25], off
	v_mov_b32_e32 v24, v31
	v_mad_u64_u32 v[24:25], s[28:29], v4, s29, v[24:25]
	v_mov_b32_e32 v31, v24
	v_lshlrev_b64 v[24:25], 3, v[30:31]
	v_add_co_u32_e32 v24, vcc, s26, v24
	v_addc_co_u32_e32 v25, vcc, v28, v25, vcc
	global_load_dwordx2 v[24:25], v[24:25], off
	v_mad_u64_u32 v[26:27], s[52:53], v4, s16, 0
	v_mad_u64_u32 v[38:39], s[52:53], v4, s20, 0
	;; [unrolled: 1-line block ×3, first 2 shown]
	v_mul_lo_u32 v31, v29, s42
	v_mad_u64_u32 v[28:29], s[26:27], v5, s42, 0
	v_mov_b32_e32 v30, v35
	v_mov_b32_e32 v44, v27
	v_mov_b32_e32 v46, v39
	v_mov_b32_e32 v48, v41
	v_add3_u32 v29, v29, v51, v31
	v_mad_u64_u32 v[30:31], s[10:11], v4, s11, v[30:31]
	v_mad_u64_u32 v[44:45], s[10:11], v4, s17, v[44:45]
	v_mad_u64_u32 v[46:47], s[10:11], v4, s21, v[46:47]
	v_mad_u64_u32 v[4:5], s[10:11], v4, s39, v[48:49]
	v_mov_b32_e32 v27, v44
	v_mov_b32_e32 v39, v46
	;; [unrolled: 1-line block ×3, first 2 shown]
	v_lshlrev_b64 v[4:5], 3, v[26:27]
	v_mov_b32_e32 v33, s3
	v_mov_b32_e32 v35, v30
	v_lshlrev_b64 v[30:31], 3, v[38:39]
	v_add_co_u32_e32 v38, vcc, s2, v4
	v_lshlrev_b64 v[26:27], 3, v[34:35]
	v_addc_co_u32_e32 v33, vcc, v33, v5, vcc
	v_add_co_u32_e32 v39, vcc, s24, v26
	v_lshlrev_b64 v[34:35], 3, v[40:41]
	v_addc_co_u32_e32 v40, vcc, v49, v27, vcc
	v_add_co_u32_e32 v4, vcc, s30, v30
	v_addc_co_u32_e32 v5, vcc, v50, v31, vcc
	v_add_co_u32_e32 v26, vcc, s0, v34
	;; [unrolled: 2-line block ×3, first 2 shown]
	v_lshlrev_b64 v[28:29], 3, v[28:29]
	v_addc_co_u32_e32 v5, vcc, v5, v43, vcc
	v_add_co_u32_e32 v26, vcc, v26, v28
	v_addc_co_u32_e32 v27, vcc, v27, v29, vcc
	s_lshl_b64 s[26:27], s[40:41], 3
	s_waitcnt vmcnt(1)
	v_mul_lo_u32 v34, v37, s18
	v_mul_lo_u32 v35, v36, s19
	v_mad_u64_u32 v[28:29], s[0:1], v36, s18, 0
	v_add3_u32 v29, v29, v35, v34
	v_mul_lo_u32 v37, v37, s12
	v_mul_lo_u32 v41, v36, s13
	v_mad_u64_u32 v[30:31], s[0:1], v36, s12, 0
	v_lshlrev_b64 v[28:29], 3, v[28:29]
	v_add3_u32 v31, v31, v41, v37
	v_add_co_u32_e32 v28, vcc, v38, v28
	v_lshlrev_b64 v[30:31], 3, v[30:31]
	v_addc_co_u32_e32 v29, vcc, v33, v29, vcc
	v_add_co_u32_e32 v30, vcc, v39, v30
	v_addc_co_u32_e32 v31, vcc, v40, v31, vcc
	v_bfrev_b32_e32 v33, 1
.LBB5_4:                                ; =>This Inner Loop Header: Depth=1
	global_load_dwordx2 v[34:35], v[4:5], off
	global_load_dwordx2 v[36:37], v[26:27], off
	;; [unrolled: 1-line block ×3, first 2 shown]
	v_pk_mov_b32 v[40:41], v[6:7], v[6:7] op_sel:[0,1]
	v_pk_mov_b32 v[42:43], v[8:9], v[8:9] op_sel:[0,1]
	;; [unrolled: 1-line block ×9, first 2 shown]
	v_add_co_u32_e64 v26, s[2:3], s26, v26
	s_waitcnt vmcnt(1)
	v_add_f64 v[34:35], v[34:35], v[36:37]
	v_add_f64 v[34:35], v[0:1], v[34:35]
	s_waitcnt vmcnt(0)
	v_add_f64 v[34:35], v[34:35], -v[38:39]
	v_mul_f64 v[36:37], v[34:35], s[4:5]
	v_rndne_f64_e32 v[36:37], v[36:37]
	v_fma_f64 v[38:39], s[34:35], v[36:37], v[34:35]
	v_fmac_f64_e32 v[38:39], s[44:45], v[36:37]
	v_fmac_f64_e32 v[40:41], s[46:47], v[38:39]
	;; [unrolled: 1-line block ×10, first 2 shown]
	v_cvt_i32_f64_e32 v58, v[36:37]
	v_fma_f64 v[36:37], v[38:39], v[56:57], 1.0
	v_fma_f64 v[36:37], v[38:39], v[36:37], 1.0
	v_ldexp_f64 v[36:37], -v[36:37], v58
	v_cmp_nlt_f64_e32 vcc, s[48:49], v[34:35]
	v_cmp_ngt_f64_e64 s[0:1], s[50:51], v[34:35]
	v_cndmask_b32_e32 v37, v32, v37, vcc
	s_and_b64 vcc, s[0:1], vcc
	v_cndmask_b32_e64 v35, v33, v37, s[0:1]
	v_cndmask_b32_e32 v34, 0, v36, vcc
	v_mul_f64 v[34:35], v[24:25], v[34:35]
	global_atomic_add_f64 v[30:31], v[34:35], off
	v_add_co_u32_e32 v2, vcc, -1, v2
	v_addc_co_u32_e32 v3, vcc, -1, v3, vcc
	v_mov_b32_e32 v35, s23
	v_add_co_u32_e32 v4, vcc, s22, v4
	v_mov_b32_e32 v37, s15
	v_add_co_u32_e64 v28, s[0:1], s14, v28
	v_addc_co_u32_e32 v5, vcc, v5, v35, vcc
	v_addc_co_u32_e64 v29, vcc, v29, v37, s[0:1]
	v_cmp_eq_u64_e32 vcc, 0, v[2:3]
	v_mov_b32_e32 v34, s27
	v_mov_b32_e32 v36, s9
	s_or_b64 s[6:7], vcc, s[6:7]
	v_add_co_u32_e32 v30, vcc, s8, v30
	v_addc_co_u32_e64 v27, s[2:3], v27, v34, s[2:3]
	v_addc_co_u32_e32 v31, vcc, v31, v36, vcc
	s_andn2_b64 exec, exec, s[6:7]
	s_cbranch_execnz .LBB5_4
.LBB5_5:
	s_endpgm
	.section	.rodata,"a",@progbits
	.p2align	6, 0x0
	.amdhsa_kernel _ZN2at6native12_GLOBAL__N_145ctc_loss_backward_collect_nonblank_gpu_kernelIdlEEvPT_PKS3_lS6_S6_S6_PKlPKT0_S8_S6_llllllllllllS8_llb
		.amdhsa_group_segment_fixed_size 0
		.amdhsa_private_segment_fixed_size 0
		.amdhsa_kernarg_size 464
		.amdhsa_user_sgpr_count 6
		.amdhsa_user_sgpr_private_segment_buffer 1
		.amdhsa_user_sgpr_dispatch_ptr 0
		.amdhsa_user_sgpr_queue_ptr 0
		.amdhsa_user_sgpr_kernarg_segment_ptr 1
		.amdhsa_user_sgpr_dispatch_id 0
		.amdhsa_user_sgpr_flat_scratch_init 0
		.amdhsa_user_sgpr_kernarg_preload_length 0
		.amdhsa_user_sgpr_kernarg_preload_offset 0
		.amdhsa_user_sgpr_private_segment_size 0
		.amdhsa_uses_dynamic_stack 0
		.amdhsa_system_sgpr_private_segment_wavefront_offset 0
		.amdhsa_system_sgpr_workgroup_id_x 1
		.amdhsa_system_sgpr_workgroup_id_y 1
		.amdhsa_system_sgpr_workgroup_id_z 0
		.amdhsa_system_sgpr_workgroup_info 0
		.amdhsa_system_vgpr_workitem_id 1
		.amdhsa_next_free_vgpr 59
		.amdhsa_next_free_sgpr 56
		.amdhsa_accum_offset 60
		.amdhsa_reserve_vcc 1
		.amdhsa_reserve_flat_scratch 0
		.amdhsa_float_round_mode_32 0
		.amdhsa_float_round_mode_16_64 0
		.amdhsa_float_denorm_mode_32 3
		.amdhsa_float_denorm_mode_16_64 3
		.amdhsa_dx10_clamp 1
		.amdhsa_ieee_mode 1
		.amdhsa_fp16_overflow 0
		.amdhsa_tg_split 0
		.amdhsa_exception_fp_ieee_invalid_op 0
		.amdhsa_exception_fp_denorm_src 0
		.amdhsa_exception_fp_ieee_div_zero 0
		.amdhsa_exception_fp_ieee_overflow 0
		.amdhsa_exception_fp_ieee_underflow 0
		.amdhsa_exception_fp_ieee_inexact 0
		.amdhsa_exception_int_div_zero 0
	.end_amdhsa_kernel
	.section	.text._ZN2at6native12_GLOBAL__N_145ctc_loss_backward_collect_nonblank_gpu_kernelIdlEEvPT_PKS3_lS6_S6_S6_PKlPKT0_S8_S6_llllllllllllS8_llb,"axG",@progbits,_ZN2at6native12_GLOBAL__N_145ctc_loss_backward_collect_nonblank_gpu_kernelIdlEEvPT_PKS3_lS6_S6_S6_PKlPKT0_S8_S6_llllllllllllS8_llb,comdat
.Lfunc_end5:
	.size	_ZN2at6native12_GLOBAL__N_145ctc_loss_backward_collect_nonblank_gpu_kernelIdlEEvPT_PKS3_lS6_S6_S6_PKlPKT0_S8_S6_llllllllllllS8_llb, .Lfunc_end5-_ZN2at6native12_GLOBAL__N_145ctc_loss_backward_collect_nonblank_gpu_kernelIdlEEvPT_PKS3_lS6_S6_S6_PKlPKT0_S8_S6_llllllllllllS8_llb
                                        ; -- End function
	.section	.AMDGPU.csdata,"",@progbits
; Kernel info:
; codeLenInByte = 1476
; NumSgprs: 60
; NumVgprs: 59
; NumAgprs: 0
; TotalNumVgprs: 59
; ScratchSize: 0
; MemoryBound: 0
; FloatMode: 240
; IeeeMode: 1
; LDSByteSize: 0 bytes/workgroup (compile time only)
; SGPRBlocks: 7
; VGPRBlocks: 7
; NumSGPRsForWavesPerEU: 60
; NumVGPRsForWavesPerEU: 59
; AccumOffset: 60
; Occupancy: 7
; WaveLimiterHint : 1
; COMPUTE_PGM_RSRC2:SCRATCH_EN: 0
; COMPUTE_PGM_RSRC2:USER_SGPR: 6
; COMPUTE_PGM_RSRC2:TRAP_HANDLER: 0
; COMPUTE_PGM_RSRC2:TGID_X_EN: 1
; COMPUTE_PGM_RSRC2:TGID_Y_EN: 1
; COMPUTE_PGM_RSRC2:TGID_Z_EN: 0
; COMPUTE_PGM_RSRC2:TIDIG_COMP_CNT: 1
; COMPUTE_PGM_RSRC3_GFX90A:ACCUM_OFFSET: 14
; COMPUTE_PGM_RSRC3_GFX90A:TG_SPLIT: 0
	.section	.text._ZN2at6native12_GLOBAL__N_136ctc_loss_backward_collect_gpu_kernelIdlEEvPT_PKS3_lS6_S6_S6_PKllPKT0_S8_lS6_llllllllllllS8_llllb,"axG",@progbits,_ZN2at6native12_GLOBAL__N_136ctc_loss_backward_collect_gpu_kernelIdlEEvPT_PKS3_lS6_S6_S6_PKllPKT0_S8_lS6_llllllllllllS8_llllb,comdat
	.globl	_ZN2at6native12_GLOBAL__N_136ctc_loss_backward_collect_gpu_kernelIdlEEvPT_PKS3_lS6_S6_S6_PKllPKT0_S8_lS6_llllllllllllS8_llllb ; -- Begin function _ZN2at6native12_GLOBAL__N_136ctc_loss_backward_collect_gpu_kernelIdlEEvPT_PKS3_lS6_S6_S6_PKllPKT0_S8_lS6_llllllllllllS8_llllb
	.p2align	8
	.type	_ZN2at6native12_GLOBAL__N_136ctc_loss_backward_collect_gpu_kernelIdlEEvPT_PKS3_lS6_S6_S6_PKllPKT0_S8_lS6_llllllllllllS8_llllb,@function
_ZN2at6native12_GLOBAL__N_136ctc_loss_backward_collect_gpu_kernelIdlEEvPT_PKS3_lS6_S6_S6_PKllPKT0_S8_lS6_llllllllllllS8_llllb: ; @_ZN2at6native12_GLOBAL__N_136ctc_loss_backward_collect_gpu_kernelIdlEEvPT_PKS3_lS6_S6_S6_PKllPKT0_S8_lS6_llllllllllllS8_llllb
; %bb.0:
	s_load_dword s2, s[4:5], 0xfc
	s_load_dwordx2 s[0:1], s[4:5], 0x38
	s_load_dwordx8 s[24:31], s[4:5], 0xc8
	v_bfe_u32 v1, v0, 10, 10
	v_mov_b32_e32 v3, 0
	s_waitcnt lgkmcnt(0)
	s_lshr_b32 s3, s2, 16
	s_mul_i32 s7, s7, s3
	v_add_u32_e32 v2, s7, v1
	v_and_b32_e32 v0, 0x3ff, v0
	v_mov_b32_e32 v1, v3
	s_and_b32 s2, s2, 0xffff
	v_mov_b32_e32 v4, s6
	v_mad_u64_u32 v[0:1], s[2:3], s2, v4, v[0:1]
	v_cmp_gt_i64_e32 vcc, s[0:1], v[0:1]
	v_cmp_gt_i64_e64 s[0:1], s[26:27], v[2:3]
	s_and_b64 s[0:1], vcc, s[0:1]
	s_and_saveexec_b64 s[2:3], s[0:1]
	s_cbranch_execz .LBB6_15
; %bb.1:
	s_load_dwordx2 s[0:1], s[4:5], 0x30
	s_load_dwordx2 s[26:27], s[4:5], 0x50
	v_lshlrev_b64 v[8:9], 3, v[2:3]
	s_waitcnt lgkmcnt(0)
	v_mov_b32_e32 v3, s1
	v_add_co_u32_e32 v4, vcc, s0, v8
	v_addc_co_u32_e32 v5, vcc, v3, v9, vcc
	global_load_dwordx2 v[6:7], v[4:5], off
	s_load_dwordx16 s[8:23], s[4:5], 0x60
	s_load_dwordx2 s[6:7], s[4:5], 0x0
	s_waitcnt lgkmcnt(0)
	v_mad_u64_u32 v[4:5], s[0:1], v2, s10, 0
	v_mov_b32_e32 v10, v5
	v_mad_u64_u32 v[10:11], s[0:1], v2, s11, v[10:11]
	v_mov_b32_e32 v5, v10
	v_cmp_lt_i64_e64 s[0:1], s[26:27], 0
	s_mov_b64 s[10:11], 0
	s_and_b64 vcc, exec, s[0:1]
	v_mul_lo_u32 v3, v1, s8
	v_mul_lo_u32 v38, v0, s9
	v_lshlrev_b64 v[4:5], 3, v[4:5]
	s_cbranch_vccnz .LBB6_10
; %bb.2:
	s_load_dwordx2 s[34:35], s[4:5], 0xc0
	s_load_dwordx4 s[0:3], s[4:5], 0x40
	s_load_dwordx4 s[44:47], s[4:5], 0x18
	s_load_dwordx8 s[36:43], s[4:5], 0xa0
	v_mul_lo_u32 v21, v1, s22
	s_waitcnt lgkmcnt(0)
	v_mov_b32_e32 v11, s35
	v_add_co_u32_e32 v10, vcc, s34, v8
	v_addc_co_u32_e32 v11, vcc, v11, v9, vcc
	global_load_dwordx2 v[14:15], v[10:11], off
	v_mov_b32_e32 v11, s3
	v_add_co_u32_e32 v10, vcc, s2, v8
	v_addc_co_u32_e32 v11, vcc, v11, v9, vcc
	global_load_dwordx2 v[16:17], v[10:11], off
	s_lshl_b64 s[2:3], s[26:27], 1
	v_mad_u64_u32 v[10:11], s[26:27], v2, s20, 0
	v_mul_lo_u32 v22, v0, s23
	v_mad_u64_u32 v[12:13], s[22:23], v0, s22, 0
	v_mad_u64_u32 v[18:19], s[22:23], v0, s8, 0
	v_mov_b32_e32 v23, s7
	v_mov_b32_e32 v20, v11
	v_add3_u32 v13, v13, v22, v21
	v_add3_u32 v19, v19, v38, v3
	v_add_co_u32_e32 v22, vcc, s6, v4
	v_addc_co_u32_e32 v23, vcc, v23, v5, vcc
	v_mad_u64_u32 v[20:21], s[20:21], v2, s21, v[20:21]
	v_lshlrev_b64 v[18:19], 3, v[18:19]
	v_mov_b32_e32 v11, v20
	v_add_co_u32_e32 v39, vcc, v22, v18
	v_addc_co_u32_e32 v40, vcc, v23, v19, vcc
	v_lshlrev_b64 v[10:11], 3, v[10:11]
	v_mad_u64_u32 v[18:19], s[20:21], v2, s38, 0
	v_mov_b32_e32 v23, s45
	v_mov_b32_e32 v22, v19
	v_add_co_u32_e32 v10, vcc, s44, v10
	v_lshlrev_b64 v[12:13], 3, v[12:13]
	v_addc_co_u32_e32 v11, vcc, v23, v11, vcc
	v_mad_u64_u32 v[22:23], s[38:39], v2, s39, v[22:23]
	v_add_co_u32_e32 v10, vcc, v10, v12
	v_mov_b32_e32 v19, v22
	v_mul_lo_u32 v25, v1, s40
	v_mul_lo_u32 v26, v0, s41
	v_mad_u64_u32 v[20:21], s[20:21], v0, s40, 0
	v_addc_co_u32_e32 v11, vcc, v11, v13, vcc
	v_lshlrev_b64 v[18:19], 3, v[18:19]
	v_mov_b32_e32 v27, s47
	v_add3_u32 v21, v21, v26, v25
	v_add_co_u32_e32 v18, vcc, s46, v18
	v_lshlrev_b64 v[12:13], 3, v[20:21]
	v_addc_co_u32_e32 v19, vcc, v27, v19, vcc
	v_add_co_u32_e32 v12, vcc, v18, v12
	v_addc_co_u32_e32 v13, vcc, v19, v13, vcc
	s_mov_b32 s26, 0
	s_mov_b32 s34, 0x652b82fe
	v_mov_b32_e32 v24, s1
	s_lshl_b64 s[20:21], s[36:37], 3
	s_lshl_b64 s[36:37], s[42:43], 3
	s_mov_b32 s38, 0xfefa39ef
	s_mov_b32 s40, 0x3b39803f
	s_mov_b32 s42, 0xfca7ab0c
	s_mov_b32 s44, 0x6a5dcb37
	s_mov_b32 s46, 0x623fde64
	s_mov_b32 s48, 0x7c89e6b0
	s_mov_b32 s50, 0x14761f6e
	s_mov_b32 s52, 0x1852b7b0
	s_mov_b32 s54, 0x11122322
	s_mov_b32 s56, 0x555502a1
	s_mov_b32 s58, 0x55555511
	s_waitcnt vmcnt(1)
	v_lshlrev_b64 v[18:19], 3, v[14:15]
	v_add_co_u32_e32 v41, vcc, s0, v18
	s_mov_b32 s60, 11
	s_mov_b32 s62, 0
	;; [unrolled: 1-line block ×8, first 2 shown]
	s_waitcnt vmcnt(0)
	v_lshlrev_b64 v[14:15], 1, v[16:17]
	v_addc_co_u32_e32 v42, vcc, v24, v19, vcc
	s_mov_b32 s39, 0xbfe62e42
	s_mov_b32 s41, 0xbc7abc9e
	;; [unrolled: 1-line block ×18, first 2 shown]
	s_movk_i32 s9, 0x204
	v_mov_b32_e32 v43, 0x7ff00000
	v_mov_b32_e32 v16, 0
	;; [unrolled: 1-line block ×17, first 2 shown]
	s_branch .LBB6_5
.LBB6_3:                                ;   in Loop: Header=BB6_5 Depth=1
	s_or_b64 exec, exec, s[76:77]
	global_store_dwordx2 v[30:31], v[34:35], off
.LBB6_4:                                ;   in Loop: Header=BB6_5 Depth=1
	s_or_b64 exec, exec, s[74:75]
	v_mov_b32_e32 v17, s21
	v_add_co_u32_e32 v10, vcc, s20, v10
	s_add_u32 s10, s10, 1
	v_addc_co_u32_e32 v11, vcc, v11, v17, vcc
	s_addc_u32 s11, s11, 0
	v_mov_b32_e32 v17, s37
	v_add_co_u32_e32 v12, vcc, s36, v12
	v_addc_co_u32_e32 v13, vcc, v13, v17, vcc
	v_pk_mov_b32 v[30:31], s[10:11], s[10:11] op_sel:[0,1]
	v_cmp_lt_i64_e32 vcc, s[2:3], v[30:31]
	s_cbranch_vccnz .LBB6_10
.LBB6_5:                                ; =>This Inner Loop Header: Depth=1
	v_cmp_le_i64_e32 vcc, s[10:11], v[14:15]
	s_and_saveexec_b64 s[74:75], vcc
	s_cbranch_execz .LBB6_4
; %bb.6:                                ;   in Loop: Header=BB6_5 Depth=1
	s_and_b32 s22, s10, 1
	s_cmp_eq_u64 s[22:23], 0
	v_pk_mov_b32 v[30:31], s[30:31], s[30:31] op_sel:[0,1]
	s_cbranch_scc1 .LBB6_8
; %bb.7:                                ;   in Loop: Header=BB6_5 Depth=1
	v_mov_b32_e32 v17, s10
	v_alignbit_b32 v17, s11, v17, 1
	v_mul_lo_u32 v30, v17, s25
	v_mul_hi_u32 v31, v17, s24
	s_lshr_b32 s0, s11, 1
	v_add_u32_e32 v30, v31, v30
	s_mul_i32 s0, s0, s24
	v_add_u32_e32 v31, s0, v30
	v_mul_lo_u32 v30, v17, s24
	v_lshlrev_b64 v[30:31], 3, v[30:31]
	v_add_co_u32_e32 v30, vcc, v41, v30
	v_addc_co_u32_e32 v31, vcc, v42, v31, vcc
	global_load_dwordx2 v[30:31], v[30:31], off
.LBB6_8:                                ;   in Loop: Header=BB6_5 Depth=1
	s_waitcnt vmcnt(0)
	v_mul_lo_u32 v17, v31, s12
	v_mul_lo_u32 v36, v30, s13
	v_mad_u64_u32 v[30:31], s[0:1], v30, s12, 0
	v_add3_u32 v31, v31, v36, v17
	v_lshlrev_b64 v[30:31], 3, v[30:31]
	v_add_co_u32_e32 v30, vcc, v39, v30
	v_addc_co_u32_e32 v31, vcc, v40, v31, vcc
	global_load_dwordx2 v[32:33], v[10:11], off
	global_load_dwordx2 v[34:35], v[12:13], off
	;; [unrolled: 1-line block ×3, first 2 shown]
	s_waitcnt vmcnt(1)
	v_add_f64 v[34:35], v[32:33], v[34:35]
	s_waitcnt vmcnt(0)
	v_cmp_neq_f64_e32 vcc, s[26:27], v[36:37]
	s_and_saveexec_b64 s[76:77], vcc
	s_cbranch_execz .LBB6_3
; %bb.9:                                ;   in Loop: Header=BB6_5 Depth=1
	v_cmp_gt_f64_e32 vcc, v[36:37], v[34:35]
	v_cndmask_b32_e32 v33, v35, v37, vcc
	v_cndmask_b32_e32 v32, v34, v36, vcc
	v_add_f64 v[36:37], v[36:37], -v[32:33]
	v_mul_f64 v[48:49], v[36:37], s[34:35]
	v_rndne_f64_e32 v[48:49], v[48:49]
	v_fma_f64 v[50:51], s[38:39], v[48:49], v[36:37]
	v_fmac_f64_e32 v[50:51], s[40:41], v[48:49]
	v_pk_mov_b32 v[52:53], s[42:43], s[42:43] op_sel:[0,1]
	v_fma_f64 v[54:55], s[44:45], v[50:51], v[52:53]
	v_fma_f64 v[54:55], v[50:51], v[54:55], s[46:47]
	;; [unrolled: 1-line block ×9, first 2 shown]
	v_fma_f64 v[54:55], v[50:51], v[54:55], 1.0
	v_fma_f64 v[50:51], v[50:51], v[54:55], 1.0
	v_cvt_i32_f64_e32 v17, v[48:49]
	v_ldexp_f64 v[48:49], v[50:51], v17
	v_cmp_nlt_f64_e32 vcc, s[62:63], v[36:37]
	v_cmp_ngt_f64_e64 s[0:1], s[64:65], v[36:37]
	v_cndmask_b32_e32 v17, v43, v49, vcc
	s_and_b64 vcc, s[0:1], vcc
	v_add_f64 v[34:35], v[34:35], -v[32:33]
	v_cndmask_b32_e32 v36, 0, v48, vcc
	v_mul_f64 v[48:49], v[34:35], s[34:35]
	v_rndne_f64_e32 v[48:49], v[48:49]
	v_fma_f64 v[50:51], s[38:39], v[48:49], v[34:35]
	v_fmac_f64_e32 v[50:51], s[40:41], v[48:49]
	v_fmac_f64_e32 v[52:53], s[44:45], v[50:51]
	v_fma_f64 v[52:53], v[50:51], v[52:53], s[46:47]
	v_fma_f64 v[52:53], v[50:51], v[52:53], s[48:49]
	v_fma_f64 v[52:53], v[50:51], v[52:53], s[50:51]
	v_fma_f64 v[52:53], v[50:51], v[52:53], s[52:53]
	v_fma_f64 v[52:53], v[50:51], v[52:53], s[54:55]
	v_fma_f64 v[52:53], v[50:51], v[52:53], s[56:57]
	v_fma_f64 v[52:53], v[50:51], v[52:53], s[58:59]
	v_fma_f64 v[52:53], v[50:51], v[52:53], s[60:61]
	v_fma_f64 v[52:53], v[50:51], v[52:53], 1.0
	v_cndmask_b32_e64 v37, 0, v17, s[0:1]
	v_fma_f64 v[50:51], v[50:51], v[52:53], 1.0
	v_cvt_i32_f64_e32 v17, v[48:49]
	v_ldexp_f64 v[48:49], v[50:51], v17
	v_cmp_nlt_f64_e32 vcc, s[62:63], v[34:35]
	v_cmp_ngt_f64_e64 s[0:1], s[64:65], v[34:35]
	v_cndmask_b32_e32 v17, v43, v49, vcc
	s_and_b64 vcc, s[0:1], vcc
	v_cndmask_b32_e64 v35, 0, v17, s[0:1]
	v_cndmask_b32_e32 v34, 0, v48, vcc
	v_add_f64 v[34:35], v[36:37], v[34:35]
	v_frexp_mant_f64_e32 v[36:37], v[34:35]
	v_cmp_gt_f64_e32 vcc, s[66:67], v[36:37]
	v_cndmask_b32_e64 v17, v44, 2.0, vcc
	v_mul_f64 v[36:37], v[36:37], v[16:17]
	v_add_f64 v[48:49], v[36:37], 1.0
	v_rcp_f64_e32 v[50:51], v[48:49]
	v_add_f64 v[54:55], v[48:49], -1.0
	v_add_f64 v[52:53], v[36:37], -1.0
	v_add_f64 v[36:37], v[36:37], -v[54:55]
	v_fma_f64 v[54:55], -v[48:49], v[50:51], 1.0
	v_fmac_f64_e32 v[50:51], v[54:55], v[50:51]
	v_fma_f64 v[54:55], -v[48:49], v[50:51], 1.0
	v_fmac_f64_e32 v[50:51], v[54:55], v[50:51]
	v_mul_f64 v[54:55], v[52:53], v[50:51]
	v_mul_f64 v[56:57], v[48:49], v[54:55]
	v_fma_f64 v[48:49], v[54:55], v[48:49], -v[56:57]
	v_fmac_f64_e32 v[48:49], v[54:55], v[36:37]
	v_add_f64 v[36:37], v[56:57], v[48:49]
	v_add_f64 v[58:59], v[52:53], -v[36:37]
	v_add_f64 v[56:57], v[36:37], -v[56:57]
	;; [unrolled: 1-line block ×5, first 2 shown]
	v_add_f64 v[36:37], v[48:49], v[36:37]
	v_add_f64 v[36:37], v[58:59], v[36:37]
	v_mul_f64 v[36:37], v[50:51], v[36:37]
	v_add_f64 v[48:49], v[54:55], v[36:37]
	v_add_f64 v[50:51], v[48:49], -v[54:55]
	v_add_f64 v[36:37], v[36:37], -v[50:51]
	v_mul_f64 v[50:51], v[48:49], v[48:49]
	v_pk_mov_b32 v[52:53], v[18:19], v[18:19] op_sel:[0,1]
	v_fmac_f64_e32 v[52:53], s[68:69], v[50:51]
	v_pk_mov_b32 v[54:55], v[20:21], v[20:21] op_sel:[0,1]
	v_fmac_f64_e32 v[54:55], v[50:51], v[52:53]
	;; [unrolled: 2-line block ×6, first 2 shown]
	v_ldexp_f64 v[52:53], v[48:49], 1
	v_mul_f64 v[48:49], v[48:49], v[50:51]
	v_mul_f64 v[48:49], v[48:49], v[54:55]
	v_add_f64 v[50:51], v[52:53], v[48:49]
	v_add_f64 v[52:53], v[50:51], -v[52:53]
	v_ldexp_f64 v[36:37], v[36:37], 1
	v_add_f64 v[48:49], v[48:49], -v[52:53]
	v_add_f64 v[36:37], v[36:37], v[48:49]
	v_frexp_exp_i32_f64_e32 v47, v[34:35]
	v_add_f64 v[48:49], v[50:51], v[36:37]
	v_subbrev_co_u32_e32 v17, vcc, 0, v47, vcc
	v_add_f64 v[50:51], v[48:49], -v[50:51]
	v_add_f64 v[36:37], v[36:37], -v[50:51]
	v_cvt_f64_i32_e32 v[50:51], v17
	s_mov_b32 s70, s38
	v_mul_f64 v[52:53], v[50:51], s[70:71]
	v_fma_f64 v[54:55], v[50:51], s[70:71], -v[52:53]
	s_mov_b32 s72, s40
	v_fmac_f64_e32 v[54:55], s[72:73], v[50:51]
	v_add_f64 v[50:51], v[52:53], v[54:55]
	v_add_f64 v[52:53], v[50:51], -v[52:53]
	v_add_f64 v[52:53], v[54:55], -v[52:53]
	v_add_f64 v[54:55], v[50:51], v[48:49]
	v_add_f64 v[56:57], v[54:55], -v[50:51]
	v_add_f64 v[58:59], v[54:55], -v[56:57]
	;; [unrolled: 1-line block ×4, first 2 shown]
	v_add_f64 v[48:49], v[48:49], v[50:51]
	v_add_f64 v[50:51], v[52:53], v[36:37]
	v_add_f64 v[56:57], v[50:51], -v[52:53]
	v_add_f64 v[58:59], v[50:51], -v[56:57]
	v_add_f64 v[48:49], v[50:51], v[48:49]
	v_add_f64 v[52:53], v[52:53], -v[58:59]
	v_add_f64 v[36:37], v[36:37], -v[56:57]
	v_add_f64 v[50:51], v[54:55], v[48:49]
	v_add_f64 v[36:37], v[36:37], v[52:53]
	v_add_f64 v[52:53], v[50:51], -v[54:55]
	v_add_f64 v[48:49], v[48:49], -v[52:53]
	v_add_f64 v[36:37], v[36:37], v[48:49]
	v_add_f64 v[36:37], v[50:51], v[36:37]
	v_cmp_class_f64_e64 vcc, v[34:35], s9
	v_cndmask_b32_e32 v17, v36, v34, vcc
	v_cndmask_b32_e32 v36, v37, v35, vcc
	v_cmp_ngt_f64_e32 vcc, 0, v[34:35]
	v_cndmask_b32_e32 v37, v45, v36, vcc
	v_cmp_nge_f64_e32 vcc, 0, v[34:35]
	v_cndmask_b32_e32 v36, 0, v17, vcc
	v_cmp_neq_f64_e32 vcc, 0, v[34:35]
	v_cndmask_b32_e32 v37, v46, v37, vcc
	v_add_f64 v[34:35], v[32:33], v[36:37]
	s_branch .LBB6_3
.LBB6_10:
	v_cmp_lt_i64_e64 s[0:1], s[28:29], 1
	s_and_b64 vcc, exec, s[0:1]
	s_cbranch_vccnz .LBB6_15
; %bb.11:
	s_load_dwordx2 s[10:11], s[4:5], 0x58
	s_load_dwordx4 s[0:3], s[4:5], 0x8
	s_load_dword s33, s[4:5], 0xe8
	s_load_dwordx2 s[34:35], s[4:5], 0x28
	v_mul_lo_u32 v17, v0, s15
	s_waitcnt lgkmcnt(0)
	v_mov_b32_e32 v10, s11
	v_add_co_u32_e32 v8, vcc, s10, v8
	v_addc_co_u32_e32 v9, vcc, v10, v9, vcc
	v_mad_u64_u32 v[10:11], s[4:5], v2, s2, 0
	v_mov_b32_e32 v12, v11
	v_mad_u64_u32 v[12:13], s[2:3], v2, s3, v[12:13]
	v_mov_b32_e32 v11, v12
	global_load_dwordx2 v[8:9], v[8:9], off
	v_lshlrev_b64 v[10:11], 3, v[10:11]
	v_mov_b32_e32 v12, s1
	v_add_co_u32_e32 v10, vcc, s0, v10
	v_addc_co_u32_e32 v11, vcc, v12, v11, vcc
	global_load_dwordx2 v[10:11], v[10:11], off
	v_mad_u64_u32 v[12:13], s[0:1], v2, s16, 0
	v_mad_u64_u32 v[14:15], s[0:1], v0, s8, 0
	s_waitcnt vmcnt(2)
	v_cmp_lt_i64_e32 vcc, v[0:1], v[6:7]
	v_mul_lo_u32 v7, v1, s14
	v_mad_u64_u32 v[0:1], s[0:1], v0, s14, 0
	v_mov_b32_e32 v16, s7
	v_mov_b32_e32 v6, v13
	v_add3_u32 v15, v15, v38, v3
	v_add_co_u32_e64 v18, s[0:1], s6, v4
	v_addc_co_u32_e64 v16, s[0:1], v16, v5, s[0:1]
	v_add3_u32 v1, v1, v17, v7
	v_mad_u64_u32 v[2:3], s[0:1], v2, s17, v[6:7]
	v_lshlrev_b64 v[4:5], 3, v[14:15]
	v_lshlrev_b64 v[6:7], 3, v[0:1]
	v_mov_b32_e32 v13, v2
	v_add_co_u32_e64 v0, s[0:1], v18, v4
	v_addc_co_u32_e64 v1, s[0:1], v16, v5, s[0:1]
	v_lshlrev_b64 v[2:3], 3, v[12:13]
	v_mov_b32_e32 v4, s35
	v_add_co_u32_e64 v2, s[0:1], s34, v2
	v_addc_co_u32_e64 v3, s[0:1], v4, v3, s[0:1]
	s_mov_b32 s36, 0
	s_bitcmp1_b32 s33, 0
	v_add_co_u32_e64 v2, s[0:1], v2, v6
	s_mov_b32 s37, 0x7ff00000
	s_cselect_b64 s[16:17], -1, 0
	v_addc_co_u32_e64 v3, s[0:1], v3, v7, s[0:1]
	s_xor_b64 s[16:17], s[16:17], -1
	s_mov_b32 s2, 0x652b82fe
	s_mov_b32 s4, 0xfefa39ef
	;; [unrolled: 1-line block ×10, first 2 shown]
	s_lshl_b64 s[6:7], s[18:19], 3
	s_mov_b32 s18, 0x555502a1
	s_mov_b32 s34, 0x55555511
	s_mov_b32 s38, 0
	s_mov_b32 s40, 0
	s_mov_b32 s3, 0x3ff71547
	s_mov_b32 s5, 0xbfe62e42
	s_mov_b32 s9, 0xbc7abc9e
	s_mov_b32 s11, 0x3e928af3
	s_mov_b32 s15, 0x3e5ade15
	s_mov_b32 s21, 0x3ec71dee
	s_mov_b32 s23, 0x3efa0199
	s_mov_b32 s25, 0x3f2a01a0
	s_mov_b32 s27, 0x3f56c16c
	s_mov_b32 s31, 0x3f811111
	s_lshl_b64 s[12:13], s[12:13], 3
	s_mov_b32 s19, 0x3fa55555
	s_mov_b32 s35, 0x3fc55555
	;; [unrolled: 1-line block ×4, first 2 shown]
	v_mov_b32_e32 v6, 0x7ff00000
	s_waitcnt vmcnt(1)
	v_cmp_neq_f64_e64 s[0:1], s[36:37], v[8:9]
	s_or_b64 s[0:1], s[16:17], s[0:1]
	s_mov_b32 s36, 11
	s_and_b64 s[16:17], vcc, s[0:1]
	s_mov_b32 s37, 0x3fe00000
	s_branch .LBB6_13
.LBB6_12:                               ;   in Loop: Header=BB6_13 Depth=1
	s_or_b64 exec, exec, s[42:43]
	global_store_dwordx2 v[0:1], v[4:5], off
	v_mov_b32_e32 v4, s7
	v_add_co_u32_e32 v2, vcc, s6, v2
	s_add_u32 s28, s28, -1
	v_addc_co_u32_e32 v3, vcc, v3, v4, vcc
	s_addc_u32 s29, s29, -1
	v_mov_b32_e32 v4, s13
	v_add_co_u32_e32 v0, vcc, s12, v0
	s_cmp_lg_u64 s[28:29], 0
	v_addc_co_u32_e32 v1, vcc, v1, v4, vcc
	s_cbranch_scc0 .LBB6_15
.LBB6_13:                               ; =>This Inner Loop Header: Depth=1
	v_pk_mov_b32 v[4:5], 0, 0
	s_and_saveexec_b64 s[42:43], s[16:17]
	s_cbranch_execz .LBB6_12
; %bb.14:                               ;   in Loop: Header=BB6_13 Depth=1
	global_load_dwordx2 v[4:5], v[2:3], off
	global_load_dwordx2 v[12:13], v[0:1], off
	v_pk_mov_b32 v[14:15], s[10:11], s[10:11] op_sel:[0,1]
	s_waitcnt vmcnt(1)
	v_mul_f64 v[16:17], v[4:5], s[2:3]
	s_waitcnt vmcnt(0)
	v_add_f64 v[12:13], v[8:9], v[12:13]
	v_rndne_f64_e32 v[16:17], v[16:17]
	v_add_f64 v[12:13], v[12:13], -v[4:5]
	v_fma_f64 v[18:19], s[4:5], v[16:17], v[4:5]
	v_mul_f64 v[20:21], v[12:13], s[2:3]
	v_cvt_i32_f64_e32 v7, v[16:17]
	v_fmac_f64_e32 v[18:19], s[8:9], v[16:17]
	v_rndne_f64_e32 v[16:17], v[20:21]
	v_fma_f64 v[20:21], s[14:15], v[18:19], v[14:15]
	v_fma_f64 v[22:23], s[4:5], v[16:17], v[12:13]
	;; [unrolled: 1-line block ×3, first 2 shown]
	v_fmac_f64_e32 v[22:23], s[8:9], v[16:17]
	v_cvt_i32_f64_e32 v24, v[16:17]
	v_fma_f64 v[16:17], v[18:19], v[20:21], s[22:23]
	v_fmac_f64_e32 v[14:15], s[14:15], v[22:23]
	v_fma_f64 v[16:17], v[18:19], v[16:17], s[24:25]
	v_fma_f64 v[14:15], v[22:23], v[14:15], s[20:21]
	;; [unrolled: 1-line block ×12, first 2 shown]
	v_fma_f64 v[16:17], v[18:19], v[16:17], 1.0
	v_fma_f64 v[14:15], v[22:23], v[14:15], s[34:35]
	v_fma_f64 v[16:17], v[18:19], v[16:17], 1.0
	v_fma_f64 v[14:15], v[22:23], v[14:15], s[36:37]
	v_ldexp_f64 v[16:17], v[16:17], v7
	v_fma_f64 v[14:15], v[22:23], v[14:15], 1.0
	v_cmp_nlt_f64_e32 vcc, s[38:39], v[4:5]
	v_cmp_ngt_f64_e64 s[0:1], s[40:41], v[4:5]
	v_cndmask_b32_e32 v7, v6, v17, vcc
	v_fma_f64 v[14:15], v[22:23], v[14:15], 1.0
	s_and_b64 vcc, s[0:1], vcc
	v_cndmask_b32_e64 v5, 0, v7, s[0:1]
	v_cndmask_b32_e32 v4, 0, v16, vcc
	v_ldexp_f64 v[14:15], v[14:15], v24
	v_cmp_nlt_f64_e32 vcc, s[38:39], v[12:13]
	v_cmp_ngt_f64_e64 s[0:1], s[40:41], v[12:13]
	v_cndmask_b32_e32 v7, v6, v15, vcc
	s_and_b64 vcc, s[0:1], vcc
	v_cndmask_b32_e64 v13, 0, v7, s[0:1]
	v_cndmask_b32_e32 v12, 0, v14, vcc
	v_add_f64 v[4:5], v[4:5], -v[12:13]
	v_mul_f64 v[4:5], v[10:11], v[4:5]
	s_branch .LBB6_12
.LBB6_15:
	s_endpgm
	.section	.rodata,"a",@progbits
	.p2align	6, 0x0
	.amdhsa_kernel _ZN2at6native12_GLOBAL__N_136ctc_loss_backward_collect_gpu_kernelIdlEEvPT_PKS3_lS6_S6_S6_PKllPKT0_S8_lS6_llllllllllllS8_llllb
		.amdhsa_group_segment_fixed_size 0
		.amdhsa_private_segment_fixed_size 0
		.amdhsa_kernarg_size 496
		.amdhsa_user_sgpr_count 6
		.amdhsa_user_sgpr_private_segment_buffer 1
		.amdhsa_user_sgpr_dispatch_ptr 0
		.amdhsa_user_sgpr_queue_ptr 0
		.amdhsa_user_sgpr_kernarg_segment_ptr 1
		.amdhsa_user_sgpr_dispatch_id 0
		.amdhsa_user_sgpr_flat_scratch_init 0
		.amdhsa_user_sgpr_kernarg_preload_length 0
		.amdhsa_user_sgpr_kernarg_preload_offset 0
		.amdhsa_user_sgpr_private_segment_size 0
		.amdhsa_uses_dynamic_stack 0
		.amdhsa_system_sgpr_private_segment_wavefront_offset 0
		.amdhsa_system_sgpr_workgroup_id_x 1
		.amdhsa_system_sgpr_workgroup_id_y 1
		.amdhsa_system_sgpr_workgroup_id_z 0
		.amdhsa_system_sgpr_workgroup_info 0
		.amdhsa_system_vgpr_workitem_id 1
		.amdhsa_next_free_vgpr 60
		.amdhsa_next_free_sgpr 78
		.amdhsa_accum_offset 60
		.amdhsa_reserve_vcc 1
		.amdhsa_reserve_flat_scratch 0
		.amdhsa_float_round_mode_32 0
		.amdhsa_float_round_mode_16_64 0
		.amdhsa_float_denorm_mode_32 3
		.amdhsa_float_denorm_mode_16_64 3
		.amdhsa_dx10_clamp 1
		.amdhsa_ieee_mode 1
		.amdhsa_fp16_overflow 0
		.amdhsa_tg_split 0
		.amdhsa_exception_fp_ieee_invalid_op 0
		.amdhsa_exception_fp_denorm_src 0
		.amdhsa_exception_fp_ieee_div_zero 0
		.amdhsa_exception_fp_ieee_overflow 0
		.amdhsa_exception_fp_ieee_underflow 0
		.amdhsa_exception_fp_ieee_inexact 0
		.amdhsa_exception_int_div_zero 0
	.end_amdhsa_kernel
	.section	.text._ZN2at6native12_GLOBAL__N_136ctc_loss_backward_collect_gpu_kernelIdlEEvPT_PKS3_lS6_S6_S6_PKllPKT0_S8_lS6_llllllllllllS8_llllb,"axG",@progbits,_ZN2at6native12_GLOBAL__N_136ctc_loss_backward_collect_gpu_kernelIdlEEvPT_PKS3_lS6_S6_S6_PKllPKT0_S8_lS6_llllllllllllS8_llllb,comdat
.Lfunc_end6:
	.size	_ZN2at6native12_GLOBAL__N_136ctc_loss_backward_collect_gpu_kernelIdlEEvPT_PKS3_lS6_S6_S6_PKllPKT0_S8_lS6_llllllllllllS8_llllb, .Lfunc_end6-_ZN2at6native12_GLOBAL__N_136ctc_loss_backward_collect_gpu_kernelIdlEEvPT_PKS3_lS6_S6_S6_PKllPKT0_S8_lS6_llllllllllllS8_llllb
                                        ; -- End function
	.section	.AMDGPU.csdata,"",@progbits
; Kernel info:
; codeLenInByte = 3332
; NumSgprs: 82
; NumVgprs: 60
; NumAgprs: 0
; TotalNumVgprs: 60
; ScratchSize: 0
; MemoryBound: 0
; FloatMode: 240
; IeeeMode: 1
; LDSByteSize: 0 bytes/workgroup (compile time only)
; SGPRBlocks: 10
; VGPRBlocks: 7
; NumSGPRsForWavesPerEU: 82
; NumVGPRsForWavesPerEU: 60
; AccumOffset: 60
; Occupancy: 7
; WaveLimiterHint : 1
; COMPUTE_PGM_RSRC2:SCRATCH_EN: 0
; COMPUTE_PGM_RSRC2:USER_SGPR: 6
; COMPUTE_PGM_RSRC2:TRAP_HANDLER: 0
; COMPUTE_PGM_RSRC2:TGID_X_EN: 1
; COMPUTE_PGM_RSRC2:TGID_Y_EN: 1
; COMPUTE_PGM_RSRC2:TGID_Z_EN: 0
; COMPUTE_PGM_RSRC2:TIDIG_COMP_CNT: 1
; COMPUTE_PGM_RSRC3_GFX90A:ACCUM_OFFSET: 14
; COMPUTE_PGM_RSRC3_GFX90A:TG_SPLIT: 0
	.section	.text._ZN2at6native12_GLOBAL__N_130ctc_loss_zero_padded_gradientsIdEEvPT_PKlllllll,"axG",@progbits,_ZN2at6native12_GLOBAL__N_130ctc_loss_zero_padded_gradientsIdEEvPT_PKlllllll,comdat
	.globl	_ZN2at6native12_GLOBAL__N_130ctc_loss_zero_padded_gradientsIdEEvPT_PKlllllll ; -- Begin function _ZN2at6native12_GLOBAL__N_130ctc_loss_zero_padded_gradientsIdEEvPT_PKlllllll
	.p2align	8
	.type	_ZN2at6native12_GLOBAL__N_130ctc_loss_zero_padded_gradientsIdEEvPT_PKlllllll,@function
_ZN2at6native12_GLOBAL__N_130ctc_loss_zero_padded_gradientsIdEEvPT_PKlllllll: ; @_ZN2at6native12_GLOBAL__N_130ctc_loss_zero_padded_gradientsIdEEvPT_PKlllllll
; %bb.0:
	s_load_dword s16, s[4:5], 0x4c
	s_load_dwordx4 s[0:3], s[4:5], 0x30
	s_load_dwordx8 s[8:15], s[4:5], 0x10
	v_bfe_u32 v1, v0, 10, 10
	v_mov_b32_e32 v3, 0
	s_waitcnt lgkmcnt(0)
	s_lshr_b32 s17, s16, 16
	s_mul_i32 s7, s7, s17
	v_add_u32_e32 v2, s7, v1
	v_and_b32_e32 v0, 0x3ff, v0
	v_mov_b32_e32 v1, v3
	s_and_b32 s7, s16, 0xffff
	v_mov_b32_e32 v4, s6
	v_mad_u64_u32 v[0:1], s[6:7], s7, v4, v[0:1]
	v_cmp_gt_i64_e32 vcc, s[0:1], v[2:3]
	v_cmp_gt_i64_e64 s[0:1], s[14:15], v[0:1]
	s_and_b64 s[0:1], vcc, s[0:1]
	s_and_saveexec_b64 s[6:7], s[0:1]
	s_cbranch_execz .LBB7_4
; %bb.1:
	s_load_dwordx2 s[0:1], s[4:5], 0x8
	v_lshlrev_b64 v[4:5], 3, v[2:3]
	v_cvt_f64_u32_e32 v[6:7], v1
	v_cvt_f64_u32_e32 v[8:9], v0
	v_ldexp_f64 v[6:7], v[6:7], 32
	s_waitcnt lgkmcnt(0)
	v_mov_b32_e32 v3, s1
	v_add_co_u32_e32 v4, vcc, s0, v4
	v_addc_co_u32_e32 v5, vcc, v3, v5, vcc
	global_load_dwordx2 v[4:5], v[4:5], off
	v_add_f64 v[6:7], v[6:7], v[8:9]
	v_cmp_gt_i64_e64 s[6:7], s[2:3], 0
	s_mov_b64 s[0:1], 0
	s_waitcnt vmcnt(0)
	v_cvt_f64_i32_e32 v[8:9], v5
	v_cvt_f64_u32_e32 v[4:5], v4
	v_ldexp_f64 v[8:9], v[8:9], 32
	v_add_f64 v[4:5], v[8:9], v[4:5]
	v_cmp_ge_f64_e32 vcc, v[6:7], v[4:5]
	s_and_b64 s[6:7], vcc, s[6:7]
	s_and_b64 exec, exec, s[6:7]
	s_cbranch_execz .LBB7_4
; %bb.2:
	s_load_dwordx2 s[4:5], s[4:5], 0x0
	v_mul_lo_u32 v3, v1, s8
	v_mul_lo_u32 v4, v0, s9
	v_mad_u64_u32 v[0:1], s[6:7], v0, s8, 0
	v_add3_u32 v1, v1, v4, v3
	v_mad_u64_u32 v[4:5], s[6:7], v2, s10, 0
	v_mov_b32_e32 v6, v5
	v_mad_u64_u32 v[2:3], s[6:7], v2, s11, v[6:7]
	v_lshlrev_b64 v[0:1], 3, v[0:1]
	v_mov_b32_e32 v5, v2
	s_waitcnt lgkmcnt(0)
	v_mov_b32_e32 v2, s5
	v_add_co_u32_e32 v3, vcc, s4, v0
	v_addc_co_u32_e32 v2, vcc, v2, v1, vcc
	v_lshlrev_b64 v[0:1], 3, v[4:5]
	v_add_co_u32_e32 v0, vcc, v3, v0
	v_addc_co_u32_e32 v1, vcc, v2, v1, vcc
	s_lshl_b64 s[4:5], s[12:13], 3
	v_mov_b32_e32 v2, 0
	v_mov_b32_e32 v3, v2
	;; [unrolled: 1-line block ×3, first 2 shown]
	v_pk_mov_b32 v[4:5], s[2:3], s[2:3] op_sel:[0,1]
.LBB7_3:                                ; =>This Inner Loop Header: Depth=1
	global_store_dwordx2 v[0:1], v[2:3], off
	s_add_u32 s0, s0, 1
	v_add_co_u32_e32 v0, vcc, s4, v0
	v_addc_co_u32_e32 v1, vcc, v1, v6, vcc
	s_addc_u32 s1, s1, 0
	v_cmp_lt_i64_e32 vcc, s[0:1], v[4:5]
	s_cbranch_vccnz .LBB7_3
.LBB7_4:
	s_endpgm
	.section	.rodata,"a",@progbits
	.p2align	6, 0x0
	.amdhsa_kernel _ZN2at6native12_GLOBAL__N_130ctc_loss_zero_padded_gradientsIdEEvPT_PKlllllll
		.amdhsa_group_segment_fixed_size 0
		.amdhsa_private_segment_fixed_size 0
		.amdhsa_kernarg_size 320
		.amdhsa_user_sgpr_count 6
		.amdhsa_user_sgpr_private_segment_buffer 1
		.amdhsa_user_sgpr_dispatch_ptr 0
		.amdhsa_user_sgpr_queue_ptr 0
		.amdhsa_user_sgpr_kernarg_segment_ptr 1
		.amdhsa_user_sgpr_dispatch_id 0
		.amdhsa_user_sgpr_flat_scratch_init 0
		.amdhsa_user_sgpr_kernarg_preload_length 0
		.amdhsa_user_sgpr_kernarg_preload_offset 0
		.amdhsa_user_sgpr_private_segment_size 0
		.amdhsa_uses_dynamic_stack 0
		.amdhsa_system_sgpr_private_segment_wavefront_offset 0
		.amdhsa_system_sgpr_workgroup_id_x 1
		.amdhsa_system_sgpr_workgroup_id_y 1
		.amdhsa_system_sgpr_workgroup_id_z 0
		.amdhsa_system_sgpr_workgroup_info 0
		.amdhsa_system_vgpr_workitem_id 1
		.amdhsa_next_free_vgpr 10
		.amdhsa_next_free_sgpr 18
		.amdhsa_accum_offset 12
		.amdhsa_reserve_vcc 1
		.amdhsa_reserve_flat_scratch 0
		.amdhsa_float_round_mode_32 0
		.amdhsa_float_round_mode_16_64 0
		.amdhsa_float_denorm_mode_32 3
		.amdhsa_float_denorm_mode_16_64 3
		.amdhsa_dx10_clamp 1
		.amdhsa_ieee_mode 1
		.amdhsa_fp16_overflow 0
		.amdhsa_tg_split 0
		.amdhsa_exception_fp_ieee_invalid_op 0
		.amdhsa_exception_fp_denorm_src 0
		.amdhsa_exception_fp_ieee_div_zero 0
		.amdhsa_exception_fp_ieee_overflow 0
		.amdhsa_exception_fp_ieee_underflow 0
		.amdhsa_exception_fp_ieee_inexact 0
		.amdhsa_exception_int_div_zero 0
	.end_amdhsa_kernel
	.section	.text._ZN2at6native12_GLOBAL__N_130ctc_loss_zero_padded_gradientsIdEEvPT_PKlllllll,"axG",@progbits,_ZN2at6native12_GLOBAL__N_130ctc_loss_zero_padded_gradientsIdEEvPT_PKlllllll,comdat
.Lfunc_end7:
	.size	_ZN2at6native12_GLOBAL__N_130ctc_loss_zero_padded_gradientsIdEEvPT_PKlllllll, .Lfunc_end7-_ZN2at6native12_GLOBAL__N_130ctc_loss_zero_padded_gradientsIdEEvPT_PKlllllll
                                        ; -- End function
	.section	.AMDGPU.csdata,"",@progbits
; Kernel info:
; codeLenInByte = 392
; NumSgprs: 22
; NumVgprs: 10
; NumAgprs: 0
; TotalNumVgprs: 10
; ScratchSize: 0
; MemoryBound: 0
; FloatMode: 240
; IeeeMode: 1
; LDSByteSize: 0 bytes/workgroup (compile time only)
; SGPRBlocks: 2
; VGPRBlocks: 1
; NumSGPRsForWavesPerEU: 22
; NumVGPRsForWavesPerEU: 10
; AccumOffset: 12
; Occupancy: 7
; WaveLimiterHint : 0
; COMPUTE_PGM_RSRC2:SCRATCH_EN: 0
; COMPUTE_PGM_RSRC2:USER_SGPR: 6
; COMPUTE_PGM_RSRC2:TRAP_HANDLER: 0
; COMPUTE_PGM_RSRC2:TGID_X_EN: 1
; COMPUTE_PGM_RSRC2:TGID_Y_EN: 1
; COMPUTE_PGM_RSRC2:TGID_Z_EN: 0
; COMPUTE_PGM_RSRC2:TIDIG_COMP_CNT: 1
; COMPUTE_PGM_RSRC3_GFX90A:ACCUM_OFFSET: 2
; COMPUTE_PGM_RSRC3_GFX90A:TG_SPLIT: 0
	.section	.text._ZN2at6native12_GLOBAL__N_137ctc_loss_backward_log_beta_gpu_kernelIdiEEvPT_PKS3_PKllPKT0_S8_lllllllS8_lll,"axG",@progbits,_ZN2at6native12_GLOBAL__N_137ctc_loss_backward_log_beta_gpu_kernelIdiEEvPT_PKS3_PKllPKT0_S8_lllllllS8_lll,comdat
	.globl	_ZN2at6native12_GLOBAL__N_137ctc_loss_backward_log_beta_gpu_kernelIdiEEvPT_PKS3_PKllPKT0_S8_lllllllS8_lll ; -- Begin function _ZN2at6native12_GLOBAL__N_137ctc_loss_backward_log_beta_gpu_kernelIdiEEvPT_PKS3_PKllPKT0_S8_lllllllS8_lll
	.p2align	8
	.type	_ZN2at6native12_GLOBAL__N_137ctc_loss_backward_log_beta_gpu_kernelIdiEEvPT_PKS3_PKllPKT0_S8_lllllllS8_lll,@function
_ZN2at6native12_GLOBAL__N_137ctc_loss_backward_log_beta_gpu_kernelIdiEEvPT_PKS3_PKllPKT0_S8_lllllllS8_lll: ; @_ZN2at6native12_GLOBAL__N_137ctc_loss_backward_log_beta_gpu_kernelIdiEEvPT_PKS3_PKllPKT0_S8_lllllllS8_lll
; %bb.0:
	s_load_dword s2, s[4:5], 0x94
	s_load_dwordx4 s[24:27], s[4:5], 0x70
	s_add_u32 s0, s4, 0x88
	s_addc_u32 s1, s5, 0
	v_bfe_u32 v1, v0, 10, 10
	s_waitcnt lgkmcnt(0)
	s_lshr_b32 s2, s2, 16
	s_mul_i32 s7, s7, s2
	v_add_u32_e32 v12, s7, v1
	v_mov_b32_e32 v13, 0
	v_cmp_gt_i64_e32 vcc, s[26:27], v[12:13]
	s_and_saveexec_b64 s[2:3], vcc
	s_cbranch_execz .LBB8_43
; %bb.1:
	s_load_dwordx2 s[2:3], s[4:5], 0x10
	v_lshlrev_b64 v[4:5], 3, v[12:13]
	s_waitcnt lgkmcnt(0)
	v_mov_b32_e32 v1, s3
	v_add_co_u32_e32 v2, vcc, s2, v4
	v_addc_co_u32_e32 v3, vcc, v1, v5, vcc
	global_load_dwordx2 v[2:3], v[2:3], off
	s_waitcnt vmcnt(0)
	v_cmp_ne_u64_e32 vcc, 0, v[2:3]
	s_and_b64 exec, exec, vcc
	s_cbranch_execz .LBB8_43
; %bb.2:
	s_load_dwordx2 s[2:3], s[4:5], 0x28
	s_load_dwordx2 s[6:7], s[4:5], 0x68
	s_waitcnt lgkmcnt(0)
	v_mov_b32_e32 v1, s3
	v_add_co_u32_e32 v6, vcc, s2, v4
	v_addc_co_u32_e32 v7, vcc, v1, v5, vcc
	v_mov_b32_e32 v1, s7
	v_add_co_u32_e32 v4, vcc, s6, v4
	v_addc_co_u32_e32 v5, vcc, v1, v5, vcc
	global_load_dwordx2 v[14:15], v[6:7], off
	s_nop 0
	global_load_dwordx2 v[6:7], v[4:5], off
	s_load_dwordx8 s[8:15], s[4:5], 0x30
	s_load_dword s2, s[0:1], 0xc
	s_mov_b32 s0, 0
	s_waitcnt lgkmcnt(0)
	s_lshl_b64 s[26:27], s[8:9], 1
	s_and_b32 s33, s2, 0xffff
	s_mov_b32 s1, s27
	s_cmp_lg_u64 s[0:1], 0
	s_cbranch_scc0 .LBB8_44
; %bb.3:
	v_cvt_f32_u32_e32 v1, s33
	v_cvt_f32_ubyte0_e32 v4, 0
	s_sub_u32 s2, 0, s33
	s_subb_u32 s3, 0, 0
	v_madmk_f32 v1, v4, 0x4f800000, v1
	v_rcp_f32_e32 v1, v1
	v_mul_f32_e32 v1, 0x5f7ffffc, v1
	v_mul_f32_e32 v4, 0x2f800000, v1
	v_trunc_f32_e32 v4, v4
	v_madmk_f32 v1, v4, 0xcf800000, v1
	v_cvt_u32_f32_e32 v4, v4
	v_cvt_u32_f32_e32 v1, v1
	v_readfirstlane_b32 s6, v4
	v_readfirstlane_b32 s7, v1
	s_mul_i32 s8, s2, s6
	s_mul_hi_u32 s16, s2, s7
	s_mul_i32 s9, s3, s7
	s_add_i32 s8, s16, s8
	s_add_i32 s8, s8, s9
	s_mul_i32 s17, s2, s7
	s_mul_hi_u32 s9, s7, s8
	s_mul_i32 s16, s7, s8
	s_mul_hi_u32 s7, s7, s17
	s_add_u32 s7, s7, s16
	s_addc_u32 s9, 0, s9
	s_mul_hi_u32 s18, s6, s17
	s_mul_i32 s17, s6, s17
	s_add_u32 s7, s7, s17
	s_mul_hi_u32 s16, s6, s8
	s_addc_u32 s7, s9, s18
	s_addc_u32 s9, s16, 0
	s_mul_i32 s8, s6, s8
	s_add_u32 s7, s7, s8
	s_addc_u32 s8, 0, s9
	v_add_co_u32_e32 v1, vcc, s7, v1
	s_cmp_lg_u64 vcc, 0
	s_addc_u32 s6, s6, s8
	v_readfirstlane_b32 s8, v1
	s_mul_i32 s7, s2, s6
	s_mul_hi_u32 s9, s2, s8
	s_add_i32 s7, s9, s7
	s_mul_i32 s3, s3, s8
	s_add_i32 s7, s7, s3
	s_mul_i32 s2, s2, s8
	s_mul_hi_u32 s9, s6, s2
	s_mul_i32 s16, s6, s2
	s_mul_i32 s18, s8, s7
	s_mul_hi_u32 s2, s8, s2
	s_mul_hi_u32 s17, s8, s7
	s_add_u32 s2, s2, s18
	s_addc_u32 s8, 0, s17
	s_add_u32 s2, s2, s16
	s_mul_hi_u32 s3, s6, s7
	s_addc_u32 s2, s8, s9
	s_addc_u32 s3, s3, 0
	s_mul_i32 s7, s6, s7
	s_add_u32 s2, s2, s7
	s_addc_u32 s3, 0, s3
	v_add_co_u32_e32 v1, vcc, s2, v1
	s_cmp_lg_u64 vcc, 0
	s_addc_u32 s8, s6, s3
	s_ashr_i32 s2, s27, 31
	s_add_u32 s6, s26, s2
	s_mov_b32 s3, s2
	s_addc_u32 s7, s27, s2
	s_xor_b64 s[6:7], s[6:7], s[2:3]
	v_readfirstlane_b32 s16, v1
	s_mul_i32 s9, s6, s8
	s_mul_hi_u32 s17, s6, s16
	s_mul_hi_u32 s3, s6, s8
	s_add_u32 s9, s17, s9
	s_addc_u32 s3, 0, s3
	s_mul_hi_u32 s18, s7, s16
	s_mul_i32 s16, s7, s16
	s_add_u32 s9, s9, s16
	s_mul_hi_u32 s17, s7, s8
	s_addc_u32 s3, s3, s18
	s_addc_u32 s9, s17, 0
	s_mul_i32 s8, s7, s8
	s_add_u32 s3, s3, s8
	s_addc_u32 s8, 0, s9
	s_mul_hi_u32 s9, s33, s3
	s_mul_i32 s3, s33, s3
	s_mul_i32 s8, s33, s8
	v_mov_b32_e32 v1, s3
	s_add_i32 s9, s9, s8
	v_sub_co_u32_e32 v1, vcc, s6, v1
	s_cmp_lg_u64 vcc, 0
	s_subb_u32 s3, s7, s9
	v_subrev_co_u32_e32 v4, vcc, s33, v1
	s_cmp_lg_u64 vcc, 0
	s_subb_u32 s6, s3, 0
	v_subrev_co_u32_e32 v5, vcc, s33, v4
	s_cmp_lg_u64 vcc, 0
	s_subb_u32 s7, s6, 0
	v_cmp_le_u32_e32 vcc, s33, v4
	s_cmp_eq_u32 s6, 0
	v_cndmask_b32_e64 v8, 0, -1, vcc
	s_cselect_b64 vcc, -1, 0
	v_cndmask_b32_e32 v8, -1, v8, vcc
	v_mov_b32_e32 v9, s6
	v_mov_b32_e32 v10, s7
	v_cmp_ne_u32_e32 vcc, 0, v8
	v_cndmask_b32_e32 v8, v9, v10, vcc
	v_cndmask_b32_e32 v4, v4, v5, vcc
	v_cmp_le_u32_e32 vcc, s33, v1
	s_cmp_eq_u32 s3, 0
	v_cndmask_b32_e64 v5, 0, -1, vcc
	s_cselect_b64 vcc, -1, 0
	v_cndmask_b32_e32 v5, -1, v5, vcc
	v_cmp_ne_u32_e32 vcc, 0, v5
	v_mov_b32_e32 v9, s3
	v_cndmask_b32_e32 v1, v1, v4, vcc
	v_cndmask_b32_e32 v5, v9, v8, vcc
	v_xor_b32_e32 v1, s2, v1
	v_xor_b32_e32 v4, s2, v5
	v_mov_b32_e32 v5, s2
	v_subrev_co_u32_e32 v20, vcc, s2, v1
	v_subb_co_u32_e32 v21, vcc, v4, v5, vcc
	s_cbranch_execnz .LBB8_5
.LBB8_4:
	v_cvt_f32_u32_e32 v1, s33
	s_sub_i32 s0, 0, s33
	s_mov_b32 s1, 0
	v_rcp_iflag_f32_e32 v1, v1
	v_mul_f32_e32 v1, 0x4f7ffffe, v1
	v_cvt_u32_f32_e32 v1, v1
	v_readfirstlane_b32 s2, v1
	s_mul_i32 s0, s0, s2
	s_mul_hi_u32 s0, s2, s0
	s_add_i32 s2, s2, s0
	s_mul_hi_u32 s0, s26, s2
	s_mul_i32 s0, s0, s33
	s_sub_i32 s0, s26, s0
	s_sub_i32 s2, s0, s33
	s_cmp_ge_u32 s0, s33
	s_cselect_b32 s0, s2, s0
	s_sub_i32 s2, s0, s33
	s_cmp_ge_u32 s0, s33
	s_cselect_b32 s0, s2, s0
	v_pk_mov_b32 v[20:21], s[0:1], s[0:1] op_sel:[0,1]
.LBB8_5:
	v_mov_b32_e32 v1, s27
	v_sub_co_u32_e32 v4, vcc, s26, v20
	v_subb_co_u32_e32 v5, vcc, v1, v21, vcc
	v_cmp_gt_i64_e32 vcc, 0, v[4:5]
	s_cbranch_vccnz .LBB8_43
; %bb.6:
	s_load_dwordx2 s[0:1], s[4:5], 0x20
	s_load_dwordx4 s[28:31], s[4:5], 0x0
	s_load_dwordx2 s[34:35], s[4:5], 0x80
	s_load_dwordx8 s[16:23], s[4:5], 0x50
	s_waitcnt vmcnt(0)
	v_lshlrev_b64 v[6:7], 2, v[6:7]
	s_waitcnt lgkmcnt(0)
	v_mov_b32_e32 v8, s1
	v_add_co_u32_e32 v1, vcc, s0, v6
	v_mad_u64_u32 v[16:17], s[0:1], v12, s12, 0
	v_mov_b32_e32 v6, v17
	v_addc_co_u32_e32 v56, vcc, v8, v7, vcc
	v_mad_u64_u32 v[6:7], s[0:1], v12, s13, v[6:7]
	v_mov_b32_e32 v17, v6
	v_lshlrev_b64 v[6:7], 1, v[14:15]
	v_add_co_u32_e32 v8, vcc, -1, v6
	v_addc_co_u32_e32 v9, vcc, -1, v7, vcc
	v_add_co_u32_e32 v10, vcc, -1, v2
	v_addc_co_u32_e32 v11, vcc, -1, v3, vcc
	v_mul_lo_u32 v13, v11, s10
	v_mul_lo_u32 v22, v10, s11
	v_mad_u64_u32 v[18:19], s[0:1], v10, s10, 0
	v_lshlrev_b64 v[16:17], 3, v[16:17]
	v_add3_u32 v19, v19, v22, v13
	v_mov_b32_e32 v13, s31
	v_add_co_u32_e32 v22, vcc, s30, v16
	v_addc_co_u32_e32 v13, vcc, v13, v17, vcc
	v_lshlrev_b64 v[18:19], 3, v[18:19]
	v_add_co_u32_e32 v36, vcc, v22, v18
	v_addc_co_u32_e32 v37, vcc, v13, v19, vcc
	v_alignbit_b32 v13, v9, v8, 1
	v_mul_lo_u32 v22, v13, s25
	v_mad_u64_u32 v[18:19], s[0:1], v13, s24, 0
	v_lshrrev_b32_e32 v13, 1, v9
	v_mul_lo_u32 v13, v13, s24
	v_add3_u32 v19, v19, v22, v13
	v_lshlrev_b64 v[18:19], 2, v[18:19]
	v_add_co_u32_e32 v18, vcc, v1, v18
	v_and_b32_e32 v0, 0x3ff, v0
	v_addc_co_u32_e32 v19, vcc, v56, v19, vcc
	v_mov_b32_e32 v13, s27
	v_add_co_u32_e32 v22, vcc, s26, v0
	v_addc_co_u32_e32 v13, vcc, 0, v13, vcc
	v_sub_co_u32_e32 v22, vcc, v22, v20
	v_subb_co_u32_e32 v23, vcc, v13, v21, vcc
	v_mul_lo_u32 v13, s21, v22
	v_mul_lo_u32 v24, s20, v23
	v_mad_u64_u32 v[20:21], s[0:1], s20, v22, 0
	v_add3_u32 v21, v21, v24, v13
	v_mul_lo_u32 v13, s19, v10
	v_mul_lo_u32 v26, s18, v11
	v_mad_u64_u32 v[24:25], s[0:1], s18, v10, 0
	v_add3_u32 v25, v25, v26, v13
	v_lshlrev_b64 v[20:21], 3, v[20:21]
	v_lshlrev_b64 v[24:25], 3, v[24:25]
	v_add_co_u32_e32 v27, vcc, v20, v24
	v_addc_co_u32_e32 v28, vcc, v21, v25, vcc
	v_mad_u64_u32 v[24:25], s[0:1], s16, v12, 0
	v_mov_b32_e32 v26, v25
	v_mad_u64_u32 v[12:13], s[0:1], s17, v12, v[26:27]
	v_mov_b32_e32 v25, v12
	v_lshlrev_b64 v[12:13], 3, v[24:25]
	v_add_co_u32_e32 v24, vcc, v27, v12
	v_addc_co_u32_e32 v25, vcc, v28, v13, vcc
	v_mov_b32_e32 v26, s29
	v_add_co_u32_e32 v24, vcc, s28, v24
	v_addc_co_u32_e32 v25, vcc, v26, v25, vcc
	s_mul_i32 s0, s21, s33
	s_mul_hi_u32 s1, s20, s33
	s_add_i32 s1, s1, s0
	s_mul_i32 s0, s20, s33
	v_sub_co_u32_e32 v26, vcc, v6, v0
	s_lshl_b64 s[0:1], s[0:1], 3
	v_subbrev_co_u32_e32 v27, vcc, 0, v7, vcc
	s_sub_u32 s80, 0, s0
	v_add_co_u32_e32 v28, vcc, -1, v26
	s_subb_u32 s81, 0, s1
	v_addc_co_u32_e32 v29, vcc, -1, v27, vcc
	v_pk_mov_b32 v[30:31], v[4:5], v[4:5] op_sel:[0,1]
	s_branch .LBB8_8
.LBB8_7:                                ;   in Loop: Header=BB8_8 Depth=1
	s_or_b64 exec, exec, s[0:1]
	v_subrev_co_u32_e32 v30, vcc, s33, v30
	v_subbrev_co_u32_e32 v31, vcc, 0, v31, vcc
	v_mov_b32_e32 v32, s81
	v_add_co_u32_e32 v24, vcc, s80, v24
	v_addc_co_u32_e32 v25, vcc, v25, v32, vcc
	v_cmp_gt_i64_e32 vcc, 0, v[30:31]
	s_cbranch_vccnz .LBB8_16
.LBB8_8:                                ; =>This Inner Loop Header: Depth=1
	v_cmp_ne_u64_e32 vcc, v[26:27], v[30:31]
	v_pk_mov_b32 v[32:33], s[34:35], s[34:35] op_sel:[0,1]
	s_mov_b64 s[2:3], -1
                                        ; implicit-def: $sgpr6_sgpr7
	s_and_saveexec_b64 s[0:1], vcc
	s_cbranch_execz .LBB8_12
; %bb.9:                                ;   in Loop: Header=BB8_8 Depth=1
	v_cmp_eq_u64_e32 vcc, v[28:29], v[30:31]
	s_mov_b64 s[2:3], 0
                                        ; implicit-def: $vgpr32_vgpr33
	s_and_saveexec_b64 s[6:7], vcc
	s_cbranch_execz .LBB8_11
; %bb.10:                               ;   in Loop: Header=BB8_8 Depth=1
	global_load_dword v32, v[18:19], off
	s_mov_b64 s[2:3], exec
	s_waitcnt vmcnt(0)
	v_ashrrev_i32_e32 v33, 31, v32
.LBB8_11:                               ;   in Loop: Header=BB8_8 Depth=1
	s_or_b64 exec, exec, s[6:7]
	s_mov_b32 s6, 0
	s_mov_b32 s7, 0xfff00000
	s_orn2_b64 s[2:3], s[2:3], exec
.LBB8_12:                               ;   in Loop: Header=BB8_8 Depth=1
	s_or_b64 exec, exec, s[0:1]
	s_waitcnt vmcnt(0)
	v_pk_mov_b32 v[34:35], s[6:7], s[6:7] op_sel:[0,1]
	s_and_saveexec_b64 s[0:1], s[2:3]
	s_cbranch_execz .LBB8_14
; %bb.13:                               ;   in Loop: Header=BB8_8 Depth=1
	v_mul_lo_u32 v34, v33, s14
	v_mul_lo_u32 v35, v32, s15
	v_mad_u64_u32 v[32:33], s[2:3], v32, s14, 0
	v_add3_u32 v33, v33, v35, v34
	v_lshlrev_b64 v[32:33], 3, v[32:33]
	v_add_co_u32_e32 v32, vcc, v36, v32
	v_addc_co_u32_e32 v33, vcc, v37, v33, vcc
	global_load_dwordx2 v[34:35], v[32:33], off
.LBB8_14:                               ;   in Loop: Header=BB8_8 Depth=1
	s_or_b64 exec, exec, s[0:1]
	v_add_co_u32_e32 v32, vcc, v0, v30
	v_addc_co_u32_e32 v33, vcc, 0, v31, vcc
	v_cmp_ge_i64_e32 vcc, s[26:27], v[32:33]
	s_and_saveexec_b64 s[0:1], vcc
	s_cbranch_execz .LBB8_7
; %bb.15:                               ;   in Loop: Header=BB8_8 Depth=1
	s_waitcnt vmcnt(0)
	global_store_dwordx2 v[24:25], v[34:35], off
	s_branch .LBB8_7
.LBB8_16:
	s_load_dwordx2 s[4:5], s[4:5], 0x18
	v_cmp_lt_i64_e64 s[0:1], 0, v[14:15]
	v_cmp_ne_u64_e64 s[2:3], 0, v[14:15]
	s_mov_b32 s22, 0xfefa39ef
	s_mov_b32 s36, 0x6a5dcb37
	s_waitcnt lgkmcnt(0)
	s_add_u32 s12, s4, -2
	s_addc_u32 s13, s5, -1
	s_mul_hi_u32 s6, s18, s12
	s_mul_i32 s7, s18, s13
	s_add_i32 s6, s6, s7
	s_mul_i32 s7, s19, s12
	s_add_i32 s7, s6, s7
	s_mul_i32 s6, s18, s12
	s_lshl_b64 s[6:7], s[6:7], 3
	s_add_u32 s6, s28, s6
	s_addc_u32 s7, s29, s7
	v_mov_b32_e32 v15, s7
	v_add_co_u32_e32 v14, vcc, s6, v20
	s_lshl_b64 s[6:7], s[18:19], 3
	s_sub_u32 s82, 0, s6
	s_subb_u32 s83, 0, s7
	s_mul_i32 s6, s10, s13
	s_mul_hi_u32 s7, s10, s12
	s_add_i32 s6, s7, s6
	s_mul_i32 s7, s11, s12
	s_add_i32 s7, s6, s7
	s_mul_i32 s6, s10, s12
	s_lshl_b64 s[6:7], s[6:7], 3
	s_add_u32 s6, s30, s6
	v_addc_co_u32_e32 v15, vcc, v15, v21, vcc
	s_addc_u32 s7, s31, s7
	v_mov_b32_e32 v18, s7
	v_add_co_u32_e32 v16, vcc, s6, v16
	s_lshl_b64 s[14:15], s[14:15], 3
	s_lshl_b64 s[6:7], s[10:11], 3
	s_sub_u32 s84, 0, s6
	s_subb_u32 s85, 0, s7
	v_cmp_gt_i64_e64 s[16:17], s[4:5], 1
	s_add_u32 s4, s4, -1
	s_addc_u32 s5, s5, -1
	s_mul_i32 s5, s18, s5
	s_mul_hi_u32 s6, s18, s4
	s_add_i32 s5, s6, s5
	s_mul_i32 s6, s19, s4
	s_add_i32 s5, s5, s6
	s_mul_i32 s4, s18, s4
	s_lshl_b64 s[4:5], s[4:5], 3
	v_addc_co_u32_e32 v17, vcc, v18, v17, vcc
	v_lshlrev_b64 v[18:19], 3, v[22:23]
	s_add_u32 s4, s28, s4
	v_add_co_u32_e32 v24, vcc, 8, v18
	s_addc_u32 s5, s29, s5
	v_addc_co_u32_e32 v25, vcc, 0, v19, vcc
	v_pk_mov_b32 v[18:19], s[4:5], s[4:5] op_sel:[0,1]
	v_mad_u64_u32 v[18:19], s[6:7], s20, v24, v[18:19]
	v_mul_lo_u32 v25, s20, v25
	v_mul_lo_u32 v24, s21, v24
	v_add3_u32 v19, v24, v19, v25
	v_mov_b32_e32 v24, s5
	v_add_co_u32_e32 v20, vcc, s4, v20
	v_addc_co_u32_e32 v21, vcc, v24, v21, vcc
	v_add_co_u32_e32 v22, vcc, 2, v22
	v_addc_co_u32_e32 v23, vcc, 0, v23, vcc
	v_mul_lo_u32 v24, s21, v22
	v_mul_lo_u32 v25, s20, v23
	v_mad_u64_u32 v[22:23], s[6:7], s20, v22, 0
	v_add3_u32 v23, v23, v25, v24
	v_lshlrev_b64 v[22:23], 3, v[22:23]
	v_mov_b32_e32 v24, s5
	v_add_co_u32_e32 v22, vcc, s4, v22
	s_mov_b32 s18, 0
	s_mov_b32 s20, 0x652b82fe
	;; [unrolled: 1-line block ×16, first 2 shown]
	v_addc_co_u32_e32 v23, vcc, v24, v23, vcc
	s_mov_b32 s19, 0xfff00000
	s_mov_b32 s21, 0x3ff71547
	s_mov_b32 s23, 0xbfe62e42
	s_mov_b32 s29, 0xbc7abc9e
	s_mov_b32 s31, 0x3e928af3
	s_mov_b32 s37, 0x3e5ade15
	s_mov_b32 s39, 0x3ec71dee
	s_mov_b32 s41, 0x3efa0199
	s_mov_b32 s43, 0x3f2a01a0
	s_mov_b32 s45, 0x3f56c16c
	s_mov_b32 s47, 0x3f811111
	s_mov_b32 s49, 0x3fa55555
	s_mov_b32 s51, 0x3fc55555
	s_mov_b32 s53, 0x3fe00000
	s_mov_b32 s55, 0x40900000
	s_mov_b32 s57, 0xc090cc00
	s_mov_b32 s59, 0x3fe55555
	s_mov_b32 s61, 0x3fc3ab76
	s_mov_b32 s63, 0x3fe62e42
	s_mov_b32 s65, 0x3c7abc9e
	s_movk_i32 s86, 0x204
	v_mov_b32_e32 v24, 0
	v_mov_b32_e32 v57, 0x7ff00000
	;; [unrolled: 1-line block ×10, first 2 shown]
	s_waitcnt vmcnt(0)
	v_mov_b32_e32 v34, 0x998ef7b6
	v_mov_b32_e32 v35, 0x3fd99999
	;; [unrolled: 1-line block ×4, first 2 shown]
	s_branch .LBB8_18
.LBB8_17:                               ;   in Loop: Header=BB8_18 Depth=1
	v_subrev_co_u32_e32 v4, vcc, s33, v4
	v_subbrev_co_u32_e32 v5, vcc, 0, v5, vcc
	v_mov_b32_e32 v25, s81
	v_add_co_u32_e32 v14, vcc, s80, v14
	v_addc_co_u32_e32 v15, vcc, v15, v25, vcc
	v_add_co_u32_e32 v18, vcc, s80, v18
	v_addc_co_u32_e32 v19, vcc, v19, v25, vcc
	v_add_co_u32_e32 v20, vcc, s80, v20
	v_addc_co_u32_e32 v21, vcc, v21, v25, vcc
	v_add_co_u32_e32 v22, vcc, s80, v22
	v_addc_co_u32_e32 v23, vcc, v23, v25, vcc
	v_cmp_gt_i64_e32 vcc, 0, v[4:5]
	s_cbranch_vccnz .LBB8_43
.LBB8_18:                               ; =>This Loop Header: Depth=1
                                        ;     Child Loop BB8_29 Depth 2
	v_add_co_u32_e32 v38, vcc, v4, v0
	v_addc_co_u32_e32 v39, vcc, 0, v5, vcc
	v_cmp_le_i64_e64 s[4:5], v[38:39], v[6:7]
	s_and_b64 s[6:7], s[0:1], s[4:5]
	v_pk_mov_b32 v[40:41], s[34:35], s[34:35] op_sel:[0,1]
	s_mov_b64 s[66:67], 0
	s_and_saveexec_b64 s[8:9], s[6:7]
	s_cbranch_execz .LBB8_26
; %bb.19:                               ;   in Loop: Header=BB8_18 Depth=1
	v_and_b32_e32 v25, 1, v38
	v_cmp_eq_u32_e32 vcc, 1, v25
	v_pk_mov_b32 v[40:41], s[34:35], s[34:35] op_sel:[0,1]
	s_and_saveexec_b64 s[10:11], vcc
	s_cbranch_execz .LBB8_21
; %bb.20:                               ;   in Loop: Header=BB8_18 Depth=1
	v_alignbit_b32 v25, v39, v38, 1
	v_mul_lo_u32 v42, v25, s25
	v_mad_u64_u32 v[40:41], s[6:7], v25, s24, 0
	v_lshrrev_b32_e32 v25, 1, v39
	v_mul_lo_u32 v25, v25, s24
	v_add3_u32 v41, v41, v42, v25
	v_lshlrev_b64 v[40:41], 2, v[40:41]
	v_add_co_u32_e64 v40, s[6:7], v1, v40
	v_addc_co_u32_e64 v41, s[6:7], v56, v41, s[6:7]
	global_load_dword v40, v[40:41], off
	s_waitcnt vmcnt(0)
	v_ashrrev_i32_e32 v41, 31, v40
.LBB8_21:                               ;   in Loop: Header=BB8_18 Depth=1
	s_or_b64 exec, exec, s[10:11]
	v_cmp_lt_i64_e64 s[6:7], v[38:39], v[8:9]
	s_and_saveexec_b64 s[10:11], s[6:7]
	s_cbranch_execz .LBB8_25
; %bb.22:                               ;   in Loop: Header=BB8_18 Depth=1
	v_pk_mov_b32 v[42:43], s[34:35], s[34:35] op_sel:[0,1]
	s_and_saveexec_b64 s[6:7], vcc
	s_cbranch_execz .LBB8_24
; %bb.23:                               ;   in Loop: Header=BB8_18 Depth=1
	v_add_co_u32_e32 v25, vcc, 2, v38
	v_addc_co_u32_e32 v44, vcc, 0, v39, vcc
	v_alignbit_b32 v25, v44, v25, 1
	v_mul_lo_u32 v45, v25, s25
	v_mad_u64_u32 v[42:43], s[66:67], v25, s24, 0
	v_lshrrev_b32_e32 v25, 1, v44
	v_mul_lo_u32 v25, v25, s24
	v_add3_u32 v43, v43, v45, v25
	v_lshlrev_b64 v[42:43], 2, v[42:43]
	v_add_co_u32_e32 v42, vcc, v1, v42
	v_addc_co_u32_e32 v43, vcc, v56, v43, vcc
	global_load_dword v42, v[42:43], off
	s_waitcnt vmcnt(0)
	v_ashrrev_i32_e32 v43, 31, v42
.LBB8_24:                               ;   in Loop: Header=BB8_18 Depth=1
	s_or_b64 exec, exec, s[6:7]
	v_cmp_ne_u64_e32 vcc, v[42:43], v[40:41]
	s_and_b64 s[66:67], vcc, exec
.LBB8_25:                               ;   in Loop: Header=BB8_18 Depth=1
	s_or_b64 exec, exec, s[10:11]
	s_and_b64 s[66:67], s[66:67], exec
.LBB8_26:                               ;   in Loop: Header=BB8_18 Depth=1
	s_or_b64 exec, exec, s[8:9]
	s_andn2_b64 vcc, exec, s[16:17]
	s_cbranch_vccnz .LBB8_17
; %bb.27:                               ;   in Loop: Header=BB8_18 Depth=1
	v_cmp_gt_i64_e64 s[6:7], 1, v[38:39]
	v_cmp_lt_i64_e32 vcc, s[26:27], v[38:39]
	s_or_b64 s[68:69], s[2:3], s[6:7]
	v_cmp_lt_i64_e64 s[6:7], v[38:39], v[6:7]
	v_mad_u64_u32 v[38:39], s[8:9], s14, v40, v[16:17]
	v_mul_lo_u32 v25, s14, v41
	v_mul_lo_u32 v40, s15, v40
	v_add3_u32 v39, v40, v39, v25
	s_xor_b64 s[70:71], s[4:5], -1
	v_pk_mov_b32 v[40:41], v[22:23], v[22:23] op_sel:[0,1]
	v_pk_mov_b32 v[42:43], v[20:21], v[20:21] op_sel:[0,1]
	;; [unrolled: 1-line block ×4, first 2 shown]
	s_mov_b64 s[72:73], s[12:13]
	s_branch .LBB8_29
.LBB8_28:                               ;   in Loop: Header=BB8_29 Depth=2
	s_or_b64 exec, exec, s[10:11]
	v_mov_b32_e32 v25, s83
	v_add_co_u32_e64 v46, s[8:9], s82, v46
	v_addc_co_u32_e64 v47, s[8:9], v47, v25, s[8:9]
	v_mov_b32_e32 v25, s85
	v_add_co_u32_e64 v38, s[8:9], s84, v38
	v_addc_co_u32_e64 v39, s[8:9], v39, v25, s[8:9]
	;; [unrolled: 3-line block ×3, first 2 shown]
	v_add_co_u32_e64 v42, s[8:9], s82, v42
	s_add_u32 s72, s72, -1
	v_addc_co_u32_e64 v43, s[8:9], v43, v25, s[8:9]
	s_addc_u32 s73, s73, -1
	v_add_co_u32_e64 v40, s[8:9], s82, v40
	s_cmp_eq_u64 s[72:73], -1
	v_addc_co_u32_e64 v41, s[8:9], v41, v25, s[8:9]
	s_cbranch_scc1 .LBB8_17
.LBB8_29:                               ;   Parent Loop BB8_18 Depth=1
                                        ; =>  This Inner Loop Header: Depth=2
	v_cmp_ge_i64_e64 s[8:9], s[72:73], v[10:11]
	s_or_b64 s[10:11], s[70:71], s[8:9]
	s_mov_b64 s[74:75], 0
	s_barrier
	s_waitcnt lgkmcnt(0)
                                        ; implicit-def: $sgpr8_sgpr9
	s_and_saveexec_b64 s[76:77], s[10:11]
	s_xor_b64 s[10:11], exec, s[76:77]
	s_cbranch_execnz .LBB8_32
; %bb.30:                               ;   in Loop: Header=BB8_29 Depth=2
	s_or_saveexec_b64 s[76:77], s[10:11]
	v_pk_mov_b32 v[48:49], s[8:9], s[8:9] op_sel:[0,1]
	s_xor_b64 exec, exec, s[76:77]
	s_cbranch_execnz .LBB8_33
.LBB8_31:                               ;   in Loop: Header=BB8_29 Depth=2
	s_or_b64 exec, exec, s[76:77]
	s_and_saveexec_b64 s[10:11], s[74:75]
	s_cbranch_execz .LBB8_28
	s_branch .LBB8_42
.LBB8_32:                               ;   in Loop: Header=BB8_29 Depth=2
	v_cmp_lt_i64_e64 s[8:9], s[72:73], v[2:3]
	s_and_b64 s[8:9], s[68:69], s[8:9]
	s_and_b64 s[8:9], s[8:9], s[4:5]
	s_or_b64 s[8:9], vcc, s[8:9]
	s_xor_b64 s[74:75], s[8:9], -1
	s_mov_b32 s8, 0
	s_mov_b32 s9, 0xfff00000
	s_and_b64 s[74:75], s[74:75], exec
	s_or_saveexec_b64 s[76:77], s[10:11]
	v_pk_mov_b32 v[48:49], s[8:9], s[8:9] op_sel:[0,1]
	s_xor_b64 exec, exec, s[76:77]
	s_cbranch_execz .LBB8_31
.LBB8_33:                               ;   in Loop: Header=BB8_29 Depth=2
	v_add_co_u32_e64 v48, s[8:9], v42, v12
	v_addc_co_u32_e64 v49, s[8:9], v43, v13, s[8:9]
	global_load_dwordx2 v[54:55], v[48:49], off
	v_mov_b32_e32 v50, 0
	v_mov_b32_e32 v51, 0xfff00000
	v_pk_mov_b32 v[52:53], v[50:51], v[50:51] op_sel:[0,1]
	s_waitcnt vmcnt(0)
	v_pk_mov_b32 v[48:49], v[54:55], v[54:55] op_sel:[0,1]
	s_and_saveexec_b64 s[10:11], s[6:7]
	s_cbranch_execz .LBB8_37
; %bb.34:                               ;   in Loop: Header=BB8_29 Depth=2
	v_add_co_u32_e64 v48, s[8:9], v44, v12
	v_addc_co_u32_e64 v49, s[8:9], v45, v13, s[8:9]
	global_load_dwordx2 v[52:53], v[48:49], off
	v_pk_mov_b32 v[48:49], v[54:55], v[54:55] op_sel:[0,1]
	s_waitcnt vmcnt(0)
	v_cmp_gt_f64_e64 s[8:9], v[52:53], v[54:55]
	s_and_saveexec_b64 s[78:79], s[8:9]
; %bb.35:                               ;   in Loop: Header=BB8_29 Depth=2
	v_pk_mov_b32 v[48:49], v[52:53], v[52:53] op_sel:[0,1]
; %bb.36:                               ;   in Loop: Header=BB8_29 Depth=2
	s_or_b64 exec, exec, s[78:79]
.LBB8_37:                               ;   in Loop: Header=BB8_29 Depth=2
	s_or_b64 exec, exec, s[10:11]
	s_and_saveexec_b64 s[10:11], s[66:67]
	s_cbranch_execz .LBB8_41
; %bb.38:                               ;   in Loop: Header=BB8_29 Depth=2
	v_add_co_u32_e64 v50, s[8:9], v40, v12
	v_addc_co_u32_e64 v51, s[8:9], v41, v13, s[8:9]
	global_load_dwordx2 v[50:51], v[50:51], off
	s_waitcnt vmcnt(0)
	v_cmp_gt_f64_e64 s[8:9], v[50:51], v[48:49]
	s_and_saveexec_b64 s[78:79], s[8:9]
; %bb.39:                               ;   in Loop: Header=BB8_29 Depth=2
	v_pk_mov_b32 v[48:49], v[50:51], v[50:51] op_sel:[0,1]
; %bb.40:                               ;   in Loop: Header=BB8_29 Depth=2
	s_or_b64 exec, exec, s[78:79]
.LBB8_41:                               ;   in Loop: Header=BB8_29 Depth=2
	s_or_b64 exec, exec, s[10:11]
	v_cmp_neq_f64_e64 s[8:9], s[18:19], v[48:49]
	v_cndmask_b32_e64 v49, 0, v49, s[8:9]
	v_cndmask_b32_e64 v48, 0, v48, s[8:9]
	v_add_f64 v[54:55], v[54:55], -v[48:49]
	v_mul_f64 v[58:59], v[54:55], s[20:21]
	v_rndne_f64_e32 v[58:59], v[58:59]
	v_fma_f64 v[60:61], s[22:23], v[58:59], v[54:55]
	v_fmac_f64_e32 v[60:61], s[28:29], v[58:59]
	v_pk_mov_b32 v[62:63], s[30:31], s[30:31] op_sel:[0,1]
	v_fma_f64 v[64:65], s[36:37], v[60:61], v[62:63]
	v_fma_f64 v[64:65], v[60:61], v[64:65], s[38:39]
	;; [unrolled: 1-line block ×9, first 2 shown]
	v_fma_f64 v[64:65], v[60:61], v[64:65], 1.0
	v_fma_f64 v[60:61], v[60:61], v[64:65], 1.0
	v_cvt_i32_f64_e32 v25, v[58:59]
	v_ldexp_f64 v[58:59], v[60:61], v25
	v_cmp_nlt_f64_e64 s[8:9], s[54:55], v[54:55]
	v_cmp_ngt_f64_e64 s[10:11], s[56:57], v[54:55]
	v_cndmask_b32_e64 v25, v57, v59, s[8:9]
	s_and_b64 s[8:9], s[10:11], s[8:9]
	v_add_f64 v[52:53], v[52:53], -v[48:49]
	v_cndmask_b32_e64 v54, 0, v58, s[8:9]
	v_mul_f64 v[58:59], v[52:53], s[20:21]
	v_rndne_f64_e32 v[58:59], v[58:59]
	v_fma_f64 v[60:61], s[22:23], v[58:59], v[52:53]
	v_fmac_f64_e32 v[60:61], s[28:29], v[58:59]
	v_fma_f64 v[64:65], s[36:37], v[60:61], v[62:63]
	v_fma_f64 v[64:65], v[60:61], v[64:65], s[38:39]
	;; [unrolled: 1-line block ×9, first 2 shown]
	v_fma_f64 v[64:65], v[60:61], v[64:65], 1.0
	v_cndmask_b32_e64 v55, 0, v25, s[10:11]
	v_fma_f64 v[60:61], v[60:61], v[64:65], 1.0
	v_cvt_i32_f64_e32 v25, v[58:59]
	v_ldexp_f64 v[58:59], v[60:61], v25
	v_cmp_nlt_f64_e64 s[8:9], s[54:55], v[52:53]
	v_cmp_ngt_f64_e64 s[10:11], s[56:57], v[52:53]
	v_cndmask_b32_e64 v25, v57, v59, s[8:9]
	s_and_b64 s[8:9], s[10:11], s[8:9]
	v_cndmask_b32_e64 v53, 0, v25, s[10:11]
	v_cndmask_b32_e64 v52, 0, v58, s[8:9]
	v_add_f64 v[50:51], v[50:51], -v[48:49]
	v_add_f64 v[52:53], v[54:55], v[52:53]
	v_mul_f64 v[54:55], v[50:51], s[20:21]
	v_rndne_f64_e32 v[54:55], v[54:55]
	v_fma_f64 v[58:59], s[22:23], v[54:55], v[50:51]
	v_fmac_f64_e32 v[58:59], s[28:29], v[54:55]
	v_fmac_f64_e32 v[62:63], s[36:37], v[58:59]
	v_fma_f64 v[60:61], v[58:59], v[62:63], s[38:39]
	v_fma_f64 v[60:61], v[58:59], v[60:61], s[40:41]
	;; [unrolled: 1-line block ×8, first 2 shown]
	v_fma_f64 v[60:61], v[58:59], v[60:61], 1.0
	v_fma_f64 v[58:59], v[58:59], v[60:61], 1.0
	v_cvt_i32_f64_e32 v25, v[54:55]
	v_ldexp_f64 v[54:55], v[58:59], v25
	v_cmp_nlt_f64_e64 s[8:9], s[54:55], v[50:51]
	v_cmp_ngt_f64_e64 s[10:11], s[56:57], v[50:51]
	v_cndmask_b32_e64 v25, v57, v55, s[8:9]
	s_and_b64 s[8:9], s[10:11], s[8:9]
	v_cndmask_b32_e64 v51, 0, v25, s[10:11]
	v_cndmask_b32_e64 v50, 0, v54, s[8:9]
	v_add_f64 v[50:51], v[50:51], v[52:53]
	v_frexp_mant_f64_e32 v[52:53], v[50:51]
	v_mov_b32_e32 v25, 0x3ff00000
	v_cmp_gt_f64_e64 s[8:9], s[58:59], v[52:53]
	v_cndmask_b32_e64 v25, v25, 2.0, s[8:9]
	v_frexp_exp_i32_f64_e32 v54, v[50:51]
	v_mul_f64 v[52:53], v[52:53], v[24:25]
	v_subbrev_co_u32_e64 v25, s[8:9], 0, v54, s[8:9]
	v_add_f64 v[54:55], v[52:53], 1.0
	v_rcp_f64_e32 v[58:59], v[54:55]
	v_add_f64 v[62:63], v[54:55], -1.0
	v_add_f64 v[60:61], v[52:53], -1.0
	v_add_f64 v[52:53], v[52:53], -v[62:63]
	v_fma_f64 v[62:63], -v[54:55], v[58:59], 1.0
	v_fmac_f64_e32 v[58:59], v[62:63], v[58:59]
	global_load_dwordx2 v[62:63], v[38:39], off
	v_fma_f64 v[64:65], -v[54:55], v[58:59], 1.0
	v_fmac_f64_e32 v[58:59], v[64:65], v[58:59]
	v_mul_f64 v[64:65], v[60:61], v[58:59]
	v_mul_f64 v[66:67], v[54:55], v[64:65]
	v_fma_f64 v[54:55], v[64:65], v[54:55], -v[66:67]
	v_fmac_f64_e32 v[54:55], v[64:65], v[52:53]
	v_add_f64 v[52:53], v[66:67], v[54:55]
	v_add_f64 v[68:69], v[60:61], -v[52:53]
	v_add_f64 v[66:67], v[52:53], -v[66:67]
	;; [unrolled: 1-line block ×5, first 2 shown]
	v_add_f64 v[52:53], v[54:55], v[52:53]
	v_add_f64 v[52:53], v[68:69], v[52:53]
	v_mul_f64 v[52:53], v[58:59], v[52:53]
	v_add_f64 v[54:55], v[64:65], v[52:53]
	v_add_f64 v[58:59], v[54:55], -v[64:65]
	v_add_f64 v[52:53], v[52:53], -v[58:59]
	v_mul_f64 v[58:59], v[54:55], v[54:55]
	v_pk_mov_b32 v[60:61], v[26:27], v[26:27] op_sel:[0,1]
	v_fmac_f64_e32 v[60:61], s[60:61], v[58:59]
	v_pk_mov_b32 v[64:65], v[28:29], v[28:29] op_sel:[0,1]
	v_fmac_f64_e32 v[64:65], v[58:59], v[60:61]
	;; [unrolled: 2-line block ×6, first 2 shown]
	v_ldexp_f64 v[60:61], v[54:55], 1
	v_mul_f64 v[54:55], v[54:55], v[58:59]
	v_mul_f64 v[54:55], v[54:55], v[64:65]
	v_add_f64 v[58:59], v[60:61], v[54:55]
	v_add_f64 v[60:61], v[58:59], -v[60:61]
	v_ldexp_f64 v[52:53], v[52:53], 1
	v_add_f64 v[54:55], v[54:55], -v[60:61]
	v_add_f64 v[52:53], v[52:53], v[54:55]
	v_add_f64 v[54:55], v[58:59], v[52:53]
	v_add_f64 v[58:59], v[54:55], -v[58:59]
	v_add_f64 v[52:53], v[52:53], -v[58:59]
	v_cvt_f64_i32_e32 v[58:59], v25
	s_mov_b32 s62, s22
	v_mul_f64 v[60:61], v[58:59], s[62:63]
	v_fma_f64 v[64:65], v[58:59], s[62:63], -v[60:61]
	s_mov_b32 s64, s28
	v_fmac_f64_e32 v[64:65], s[64:65], v[58:59]
	v_add_f64 v[58:59], v[60:61], v[64:65]
	v_add_f64 v[60:61], v[58:59], -v[60:61]
	v_add_f64 v[60:61], v[64:65], -v[60:61]
	v_add_f64 v[64:65], v[58:59], v[54:55]
	v_add_f64 v[66:67], v[64:65], -v[58:59]
	v_add_f64 v[68:69], v[64:65], -v[66:67]
	;; [unrolled: 1-line block ×4, first 2 shown]
	v_add_f64 v[54:55], v[54:55], v[58:59]
	v_add_f64 v[58:59], v[60:61], v[52:53]
	v_add_f64 v[66:67], v[58:59], -v[60:61]
	v_add_f64 v[68:69], v[58:59], -v[66:67]
	v_add_f64 v[54:55], v[58:59], v[54:55]
	v_add_f64 v[60:61], v[60:61], -v[68:69]
	v_add_f64 v[52:53], v[52:53], -v[66:67]
	v_add_f64 v[58:59], v[64:65], v[54:55]
	v_add_f64 v[52:53], v[52:53], v[60:61]
	v_add_f64 v[60:61], v[58:59], -v[64:65]
	v_add_f64 v[54:55], v[54:55], -v[60:61]
	v_add_f64 v[52:53], v[52:53], v[54:55]
	v_add_f64 v[52:53], v[58:59], v[52:53]
	v_cmp_class_f64_e64 s[8:9], v[50:51], s86
	v_cndmask_b32_e64 v25, v52, v50, s[8:9]
	v_cndmask_b32_e64 v52, v53, v51, s[8:9]
	v_mov_b32_e32 v53, 0x7ff80000
	v_cmp_ngt_f64_e64 s[8:9], 0, v[50:51]
	v_cndmask_b32_e64 v53, v53, v52, s[8:9]
	v_cmp_nge_f64_e64 s[8:9], 0, v[50:51]
	v_cndmask_b32_e64 v52, 0, v25, s[8:9]
	v_mov_b32_e32 v25, 0xfff00000
	v_cmp_neq_f64_e64 s[8:9], 0, v[50:51]
	v_cndmask_b32_e64 v53, v25, v53, s[8:9]
	v_add_f64 v[48:49], v[48:49], v[52:53]
	s_waitcnt vmcnt(0)
	v_add_f64 v[48:49], v[62:63], v[48:49]
	s_or_b64 s[74:75], s[74:75], exec
	s_or_b64 exec, exec, s[76:77]
	s_and_saveexec_b64 s[10:11], s[74:75]
	s_cbranch_execz .LBB8_28
.LBB8_42:                               ;   in Loop: Header=BB8_29 Depth=2
	v_add_co_u32_e64 v50, s[8:9], v46, v12
	v_addc_co_u32_e64 v51, s[8:9], v47, v13, s[8:9]
	global_store_dwordx2 v[50:51], v[48:49], off
	s_branch .LBB8_28
.LBB8_43:
	s_endpgm
.LBB8_44:
                                        ; implicit-def: $vgpr20_vgpr21
	s_branch .LBB8_4
	.section	.rodata,"a",@progbits
	.p2align	6, 0x0
	.amdhsa_kernel _ZN2at6native12_GLOBAL__N_137ctc_loss_backward_log_beta_gpu_kernelIdiEEvPT_PKS3_PKllPKT0_S8_lllllllS8_lll
		.amdhsa_group_segment_fixed_size 0
		.amdhsa_private_segment_fixed_size 0
		.amdhsa_kernarg_size 392
		.amdhsa_user_sgpr_count 6
		.amdhsa_user_sgpr_private_segment_buffer 1
		.amdhsa_user_sgpr_dispatch_ptr 0
		.amdhsa_user_sgpr_queue_ptr 0
		.amdhsa_user_sgpr_kernarg_segment_ptr 1
		.amdhsa_user_sgpr_dispatch_id 0
		.amdhsa_user_sgpr_flat_scratch_init 0
		.amdhsa_user_sgpr_kernarg_preload_length 0
		.amdhsa_user_sgpr_kernarg_preload_offset 0
		.amdhsa_user_sgpr_private_segment_size 0
		.amdhsa_uses_dynamic_stack 0
		.amdhsa_system_sgpr_private_segment_wavefront_offset 0
		.amdhsa_system_sgpr_workgroup_id_x 1
		.amdhsa_system_sgpr_workgroup_id_y 1
		.amdhsa_system_sgpr_workgroup_id_z 0
		.amdhsa_system_sgpr_workgroup_info 0
		.amdhsa_system_vgpr_workitem_id 1
		.amdhsa_next_free_vgpr 70
		.amdhsa_next_free_sgpr 87
		.amdhsa_accum_offset 72
		.amdhsa_reserve_vcc 1
		.amdhsa_reserve_flat_scratch 0
		.amdhsa_float_round_mode_32 0
		.amdhsa_float_round_mode_16_64 0
		.amdhsa_float_denorm_mode_32 3
		.amdhsa_float_denorm_mode_16_64 3
		.amdhsa_dx10_clamp 1
		.amdhsa_ieee_mode 1
		.amdhsa_fp16_overflow 0
		.amdhsa_tg_split 0
		.amdhsa_exception_fp_ieee_invalid_op 0
		.amdhsa_exception_fp_denorm_src 0
		.amdhsa_exception_fp_ieee_div_zero 0
		.amdhsa_exception_fp_ieee_overflow 0
		.amdhsa_exception_fp_ieee_underflow 0
		.amdhsa_exception_fp_ieee_inexact 0
		.amdhsa_exception_int_div_zero 0
	.end_amdhsa_kernel
	.section	.text._ZN2at6native12_GLOBAL__N_137ctc_loss_backward_log_beta_gpu_kernelIdiEEvPT_PKS3_PKllPKT0_S8_lllllllS8_lll,"axG",@progbits,_ZN2at6native12_GLOBAL__N_137ctc_loss_backward_log_beta_gpu_kernelIdiEEvPT_PKS3_PKllPKT0_S8_lllllllS8_lll,comdat
.Lfunc_end8:
	.size	_ZN2at6native12_GLOBAL__N_137ctc_loss_backward_log_beta_gpu_kernelIdiEEvPT_PKS3_PKllPKT0_S8_lllllllS8_lll, .Lfunc_end8-_ZN2at6native12_GLOBAL__N_137ctc_loss_backward_log_beta_gpu_kernelIdiEEvPT_PKS3_PKllPKT0_S8_lllllllS8_lll
                                        ; -- End function
	.section	.AMDGPU.csdata,"",@progbits
; Kernel info:
; codeLenInByte = 4524
; NumSgprs: 91
; NumVgprs: 70
; NumAgprs: 0
; TotalNumVgprs: 70
; ScratchSize: 0
; MemoryBound: 0
; FloatMode: 240
; IeeeMode: 1
; LDSByteSize: 0 bytes/workgroup (compile time only)
; SGPRBlocks: 11
; VGPRBlocks: 8
; NumSGPRsForWavesPerEU: 91
; NumVGPRsForWavesPerEU: 70
; AccumOffset: 72
; Occupancy: 7
; WaveLimiterHint : 1
; COMPUTE_PGM_RSRC2:SCRATCH_EN: 0
; COMPUTE_PGM_RSRC2:USER_SGPR: 6
; COMPUTE_PGM_RSRC2:TRAP_HANDLER: 0
; COMPUTE_PGM_RSRC2:TGID_X_EN: 1
; COMPUTE_PGM_RSRC2:TGID_Y_EN: 1
; COMPUTE_PGM_RSRC2:TGID_Z_EN: 0
; COMPUTE_PGM_RSRC2:TIDIG_COMP_CNT: 1
; COMPUTE_PGM_RSRC3_GFX90A:ACCUM_OFFSET: 17
; COMPUTE_PGM_RSRC3_GFX90A:TG_SPLIT: 0
	.section	.text._ZN2at6native12_GLOBAL__N_145ctc_loss_backward_collect_nonblank_gpu_kernelIdiEEvPT_PKS3_lS6_S6_S6_PKlPKT0_S8_S6_llllllllllllS8_llb,"axG",@progbits,_ZN2at6native12_GLOBAL__N_145ctc_loss_backward_collect_nonblank_gpu_kernelIdiEEvPT_PKS3_lS6_S6_S6_PKlPKT0_S8_S6_llllllllllllS8_llb,comdat
	.globl	_ZN2at6native12_GLOBAL__N_145ctc_loss_backward_collect_nonblank_gpu_kernelIdiEEvPT_PKS3_lS6_S6_S6_PKlPKT0_S8_S6_llllllllllllS8_llb ; -- Begin function _ZN2at6native12_GLOBAL__N_145ctc_loss_backward_collect_nonblank_gpu_kernelIdiEEvPT_PKS3_lS6_S6_S6_PKlPKT0_S8_S6_llllllllllllS8_llb
	.p2align	8
	.type	_ZN2at6native12_GLOBAL__N_145ctc_loss_backward_collect_nonblank_gpu_kernelIdiEEvPT_PKS3_lS6_S6_S6_PKlPKT0_S8_S6_llllllllllllS8_llb,@function
_ZN2at6native12_GLOBAL__N_145ctc_loss_backward_collect_nonblank_gpu_kernelIdiEEvPT_PKS3_lS6_S6_S6_PKlPKT0_S8_S6_llllllllllllS8_llb: ; @_ZN2at6native12_GLOBAL__N_145ctc_loss_backward_collect_nonblank_gpu_kernelIdiEEvPT_PKS3_lS6_S6_S6_PKlPKT0_S8_S6_llllllllllllS8_llb
; %bb.0:
	s_load_dword s0, s[4:5], 0xdc
	s_load_dwordx4 s[44:47], s[4:5], 0xb8
	v_bfe_u32 v1, v0, 10, 10
	v_mov_b32_e32 v5, 0
	s_waitcnt lgkmcnt(0)
	s_lshr_b32 s1, s0, 16
	s_mul_i32 s7, s7, s1
	v_add_u32_e32 v4, s7, v1
	v_cmp_gt_i64_e32 vcc, s[46:47], v[4:5]
	s_and_saveexec_b64 s[2:3], vcc
	s_cbranch_execz .LBB9_5
; %bb.1:
	s_load_dwordx2 s[2:3], s[4:5], 0x40
	v_lshlrev_b64 v[8:9], 3, v[4:5]
	v_and_b32_e32 v0, 0x3ff, v0
	s_and_b32 s0, s0, 0xffff
	s_waitcnt lgkmcnt(0)
	v_mov_b32_e32 v1, s3
	v_add_co_u32_e32 v2, vcc, s2, v8
	v_addc_co_u32_e32 v3, vcc, v1, v9, vcc
	global_load_dwordx2 v[2:3], v[2:3], off
	v_mov_b32_e32 v1, v5
	v_mov_b32_e32 v5, s6
	v_mad_u64_u32 v[6:7], s[0:1], s0, v5, v[0:1]
	s_waitcnt vmcnt(0)
	v_cmp_lt_i64_e32 vcc, v[6:7], v[2:3]
	s_and_b64 exec, exec, vcc
	s_cbranch_execz .LBB9_5
; %bb.2:
	s_load_dword s8, s[4:5], 0xc8
	s_load_dwordx2 s[0:1], s[4:5], 0x30
	s_load_dwordx2 s[2:3], s[4:5], 0x48
	s_mov_b64 s[6:7], 0
	s_waitcnt lgkmcnt(0)
	s_bitcmp1_b32 s8, 0
	v_mov_b32_e32 v3, s1
	v_mov_b32_e32 v1, s3
	v_add_co_u32_e32 v0, vcc, s2, v8
	v_addc_co_u32_e32 v1, vcc, v1, v9, vcc
	v_add_co_u32_e32 v2, vcc, s0, v8
	global_load_dwordx2 v[0:1], v[0:1], off
	v_addc_co_u32_e32 v3, vcc, v3, v9, vcc
	global_load_dwordx2 v[2:3], v[2:3], off
	s_mov_b32 s0, 0
	s_mov_b32 s1, 0x7ff00000
	s_cselect_b64 s[2:3], -1, 0
	s_xor_b64 s[2:3], s[2:3], -1
	s_waitcnt vmcnt(1)
	v_cmp_neq_f64_e32 vcc, s[0:1], v[0:1]
	s_or_b64 s[0:1], s[2:3], vcc
	s_waitcnt vmcnt(0)
	v_cmp_lt_i64_e32 vcc, 0, v[2:3]
	s_and_b64 s[0:1], s[0:1], vcc
	s_and_b64 exec, exec, s[0:1]
	s_cbranch_execz .LBB9_5
; %bb.3:
	s_load_dwordx2 s[0:1], s[4:5], 0xb0
	v_mul_lo_u32 v30, v6, s45
	v_lshlrev_b64 v[28:29], 1, v[6:7]
	s_mov_b32 s34, 0xfefa39ef
	s_mov_b32 s46, 0x6a5dcb37
	s_waitcnt lgkmcnt(0)
	v_mov_b32_e32 v5, s1
	v_add_co_u32_e32 v8, vcc, s0, v8
	v_addc_co_u32_e32 v9, vcc, v5, v9, vcc
	global_load_dwordx2 v[24:25], v[8:9], off
	s_load_dwordx8 s[24:31], s[4:5], 0x0
	s_load_dwordx4 s[0:3], s[4:5], 0x20
	s_load_dwordx2 s[52:53], s[4:5], 0x38
	s_load_dwordx16 s[8:23], s[4:5], 0x50
	s_load_dwordx8 s[36:43], s[4:5], 0x90
	v_mul_lo_u32 v5, v7, s44
	v_mad_u64_u32 v[26:27], s[4:5], v6, s44, 0
	v_add3_u32 v27, v27, v30, v5
	s_waitcnt lgkmcnt(0)
	v_mov_b32_e32 v33, s53
	v_lshlrev_b64 v[26:27], 2, v[26:27]
	v_mad_u64_u32 v[30:31], s[54:55], v4, s28, 0
	v_or_b32_e32 v5, 1, v28
	v_mov_b32_e32 v28, s27
	v_mad_u64_u32 v[34:35], s[54:55], v4, s10, 0
	v_mul_lo_u32 v43, v29, s36
	v_mul_lo_u32 v45, v5, s37
	v_mad_u64_u32 v[40:41], s[36:37], v5, s36, 0
	v_mul_lo_u32 v50, v5, s43
	v_mov_b32_e32 v47, s3
	v_add3_u32 v41, v41, v45, v43
	v_mov_b32_e32 v48, s25
	v_mov_b32_e32 v49, s31
	;; [unrolled: 1-line block ×3, first 2 shown]
	v_lshlrev_b64 v[40:41], 3, v[40:41]
	s_mov_b32 s4, 0x652b82fe
	s_mov_b32 s44, 0x3b39803f
	;; [unrolled: 1-line block ×10, first 2 shown]
	v_mov_b32_e32 v6, 0xfca7ab0c
	v_mov_b32_e32 v7, 0x3e928af3
	;; [unrolled: 1-line block ×19, first 2 shown]
	s_lshl_b64 s[22:23], s[22:23], 3
	s_lshl_b64 s[8:9], s[8:9], 3
	;; [unrolled: 1-line block ×3, first 2 shown]
	s_waitcnt vmcnt(0)
	v_lshlrev_b64 v[24:25], 2, v[24:25]
	v_add_co_u32_e32 v24, vcc, s52, v24
	v_addc_co_u32_e32 v25, vcc, v33, v25, vcc
	v_add_co_u32_e32 v24, vcc, v24, v26
	v_addc_co_u32_e32 v25, vcc, v25, v27, vcc
	global_load_dword v33, v[24:25], off
	v_mov_b32_e32 v24, v31
	v_mad_u64_u32 v[24:25], s[28:29], v4, s29, v[24:25]
	v_mov_b32_e32 v31, v24
	v_lshlrev_b64 v[24:25], 3, v[30:31]
	v_add_co_u32_e32 v24, vcc, s26, v24
	v_addc_co_u32_e32 v25, vcc, v28, v25, vcc
	global_load_dwordx2 v[24:25], v[24:25], off
	v_mad_u64_u32 v[26:27], s[52:53], v4, s16, 0
	v_mad_u64_u32 v[36:37], s[52:53], v4, s20, 0
	;; [unrolled: 1-line block ×3, first 2 shown]
	v_mul_lo_u32 v31, v29, s42
	v_mad_u64_u32 v[28:29], s[26:27], v5, s42, 0
	v_mov_b32_e32 v30, v35
	v_mov_b32_e32 v42, v27
	;; [unrolled: 1-line block ×4, first 2 shown]
	v_add3_u32 v29, v29, v50, v31
	v_mad_u64_u32 v[30:31], s[10:11], v4, s11, v[30:31]
	v_mad_u64_u32 v[42:43], s[10:11], v4, s17, v[42:43]
	;; [unrolled: 1-line block ×4, first 2 shown]
	v_mov_b32_e32 v27, v42
	v_mov_b32_e32 v37, v44
	;; [unrolled: 1-line block ×3, first 2 shown]
	v_lshlrev_b64 v[4:5], 3, v[26:27]
	v_mov_b32_e32 v35, v30
	v_lshlrev_b64 v[30:31], 3, v[36:37]
	v_add_co_u32_e32 v36, vcc, s2, v4
	v_lshlrev_b64 v[26:27], 3, v[34:35]
	v_addc_co_u32_e32 v37, vcc, v47, v5, vcc
	v_lshlrev_b64 v[34:35], 3, v[38:39]
	v_add_co_u32_e32 v38, vcc, s24, v26
	v_addc_co_u32_e32 v39, vcc, v48, v27, vcc
	v_add_co_u32_e32 v4, vcc, s30, v30
	v_addc_co_u32_e32 v5, vcc, v49, v31, vcc
	;; [unrolled: 2-line block ×3, first 2 shown]
	v_add_co_u32_e32 v4, vcc, v4, v40
	v_lshlrev_b64 v[28:29], 3, v[28:29]
	v_addc_co_u32_e32 v5, vcc, v5, v41, vcc
	v_add_co_u32_e32 v26, vcc, v26, v28
	v_addc_co_u32_e32 v27, vcc, v27, v29, vcc
	s_lshl_b64 s[26:27], s[40:41], 3
	s_waitcnt vmcnt(1)
	v_ashrrev_i32_e32 v34, 31, v33
	v_mul_lo_u32 v35, v33, s19
	v_mad_u64_u32 v[28:29], s[0:1], v33, s18, 0
	v_mul_lo_u32 v40, v33, s13
	v_mad_u64_u32 v[30:31], s[0:1], v33, s12, 0
	v_mul_lo_u32 v33, v34, s18
	v_add3_u32 v29, v29, v35, v33
	v_mul_lo_u32 v34, v34, s12
	v_lshlrev_b64 v[28:29], 3, v[28:29]
	v_add3_u32 v31, v31, v40, v34
	v_add_co_u32_e32 v28, vcc, v36, v28
	v_lshlrev_b64 v[30:31], 3, v[30:31]
	v_addc_co_u32_e32 v29, vcc, v37, v29, vcc
	v_add_co_u32_e32 v30, vcc, v38, v30
	v_addc_co_u32_e32 v31, vcc, v39, v31, vcc
	v_bfrev_b32_e32 v33, 1
.LBB9_4:                                ; =>This Inner Loop Header: Depth=1
	global_load_dwordx2 v[34:35], v[4:5], off
	global_load_dwordx2 v[36:37], v[26:27], off
	;; [unrolled: 1-line block ×3, first 2 shown]
	v_pk_mov_b32 v[40:41], v[6:7], v[6:7] op_sel:[0,1]
	v_pk_mov_b32 v[42:43], v[8:9], v[8:9] op_sel:[0,1]
	;; [unrolled: 1-line block ×9, first 2 shown]
	v_add_co_u32_e64 v26, s[2:3], s26, v26
	s_waitcnt vmcnt(1)
	v_add_f64 v[34:35], v[34:35], v[36:37]
	v_add_f64 v[34:35], v[0:1], v[34:35]
	s_waitcnt vmcnt(0)
	v_add_f64 v[34:35], v[34:35], -v[38:39]
	v_mul_f64 v[36:37], v[34:35], s[4:5]
	v_rndne_f64_e32 v[36:37], v[36:37]
	v_fma_f64 v[38:39], s[34:35], v[36:37], v[34:35]
	v_fmac_f64_e32 v[38:39], s[44:45], v[36:37]
	v_fmac_f64_e32 v[40:41], s[46:47], v[38:39]
	;; [unrolled: 1-line block ×10, first 2 shown]
	v_cvt_i32_f64_e32 v58, v[36:37]
	v_fma_f64 v[36:37], v[38:39], v[56:57], 1.0
	v_fma_f64 v[36:37], v[38:39], v[36:37], 1.0
	v_ldexp_f64 v[36:37], -v[36:37], v58
	v_cmp_nlt_f64_e32 vcc, s[48:49], v[34:35]
	v_cmp_ngt_f64_e64 s[0:1], s[50:51], v[34:35]
	v_cndmask_b32_e32 v37, v32, v37, vcc
	s_and_b64 vcc, s[0:1], vcc
	v_cndmask_b32_e64 v35, v33, v37, s[0:1]
	v_cndmask_b32_e32 v34, 0, v36, vcc
	v_mul_f64 v[34:35], v[24:25], v[34:35]
	global_atomic_add_f64 v[30:31], v[34:35], off
	v_add_co_u32_e32 v2, vcc, -1, v2
	v_addc_co_u32_e32 v3, vcc, -1, v3, vcc
	v_mov_b32_e32 v35, s23
	v_add_co_u32_e32 v4, vcc, s22, v4
	v_mov_b32_e32 v37, s15
	v_add_co_u32_e64 v28, s[0:1], s14, v28
	v_addc_co_u32_e32 v5, vcc, v5, v35, vcc
	v_addc_co_u32_e64 v29, vcc, v29, v37, s[0:1]
	v_cmp_eq_u64_e32 vcc, 0, v[2:3]
	v_mov_b32_e32 v34, s27
	v_mov_b32_e32 v36, s9
	s_or_b64 s[6:7], vcc, s[6:7]
	v_add_co_u32_e32 v30, vcc, s8, v30
	v_addc_co_u32_e64 v27, s[2:3], v27, v34, s[2:3]
	v_addc_co_u32_e32 v31, vcc, v31, v36, vcc
	s_andn2_b64 exec, exec, s[6:7]
	s_cbranch_execnz .LBB9_4
.LBB9_5:
	s_endpgm
	.section	.rodata,"a",@progbits
	.p2align	6, 0x0
	.amdhsa_kernel _ZN2at6native12_GLOBAL__N_145ctc_loss_backward_collect_nonblank_gpu_kernelIdiEEvPT_PKS3_lS6_S6_S6_PKlPKT0_S8_S6_llllllllllllS8_llb
		.amdhsa_group_segment_fixed_size 0
		.amdhsa_private_segment_fixed_size 0
		.amdhsa_kernarg_size 464
		.amdhsa_user_sgpr_count 6
		.amdhsa_user_sgpr_private_segment_buffer 1
		.amdhsa_user_sgpr_dispatch_ptr 0
		.amdhsa_user_sgpr_queue_ptr 0
		.amdhsa_user_sgpr_kernarg_segment_ptr 1
		.amdhsa_user_sgpr_dispatch_id 0
		.amdhsa_user_sgpr_flat_scratch_init 0
		.amdhsa_user_sgpr_kernarg_preload_length 0
		.amdhsa_user_sgpr_kernarg_preload_offset 0
		.amdhsa_user_sgpr_private_segment_size 0
		.amdhsa_uses_dynamic_stack 0
		.amdhsa_system_sgpr_private_segment_wavefront_offset 0
		.amdhsa_system_sgpr_workgroup_id_x 1
		.amdhsa_system_sgpr_workgroup_id_y 1
		.amdhsa_system_sgpr_workgroup_id_z 0
		.amdhsa_system_sgpr_workgroup_info 0
		.amdhsa_system_vgpr_workitem_id 1
		.amdhsa_next_free_vgpr 59
		.amdhsa_next_free_sgpr 56
		.amdhsa_accum_offset 60
		.amdhsa_reserve_vcc 1
		.amdhsa_reserve_flat_scratch 0
		.amdhsa_float_round_mode_32 0
		.amdhsa_float_round_mode_16_64 0
		.amdhsa_float_denorm_mode_32 3
		.amdhsa_float_denorm_mode_16_64 3
		.amdhsa_dx10_clamp 1
		.amdhsa_ieee_mode 1
		.amdhsa_fp16_overflow 0
		.amdhsa_tg_split 0
		.amdhsa_exception_fp_ieee_invalid_op 0
		.amdhsa_exception_fp_denorm_src 0
		.amdhsa_exception_fp_ieee_div_zero 0
		.amdhsa_exception_fp_ieee_overflow 0
		.amdhsa_exception_fp_ieee_underflow 0
		.amdhsa_exception_fp_ieee_inexact 0
		.amdhsa_exception_int_div_zero 0
	.end_amdhsa_kernel
	.section	.text._ZN2at6native12_GLOBAL__N_145ctc_loss_backward_collect_nonblank_gpu_kernelIdiEEvPT_PKS3_lS6_S6_S6_PKlPKT0_S8_S6_llllllllllllS8_llb,"axG",@progbits,_ZN2at6native12_GLOBAL__N_145ctc_loss_backward_collect_nonblank_gpu_kernelIdiEEvPT_PKS3_lS6_S6_S6_PKlPKT0_S8_S6_llllllllllllS8_llb,comdat
.Lfunc_end9:
	.size	_ZN2at6native12_GLOBAL__N_145ctc_loss_backward_collect_nonblank_gpu_kernelIdiEEvPT_PKS3_lS6_S6_S6_PKlPKT0_S8_S6_llllllllllllS8_llb, .Lfunc_end9-_ZN2at6native12_GLOBAL__N_145ctc_loss_backward_collect_nonblank_gpu_kernelIdiEEvPT_PKS3_lS6_S6_S6_PKlPKT0_S8_S6_llllllllllllS8_llb
                                        ; -- End function
	.section	.AMDGPU.csdata,"",@progbits
; Kernel info:
; codeLenInByte = 1480
; NumSgprs: 60
; NumVgprs: 59
; NumAgprs: 0
; TotalNumVgprs: 59
; ScratchSize: 0
; MemoryBound: 0
; FloatMode: 240
; IeeeMode: 1
; LDSByteSize: 0 bytes/workgroup (compile time only)
; SGPRBlocks: 7
; VGPRBlocks: 7
; NumSGPRsForWavesPerEU: 60
; NumVGPRsForWavesPerEU: 59
; AccumOffset: 60
; Occupancy: 7
; WaveLimiterHint : 1
; COMPUTE_PGM_RSRC2:SCRATCH_EN: 0
; COMPUTE_PGM_RSRC2:USER_SGPR: 6
; COMPUTE_PGM_RSRC2:TRAP_HANDLER: 0
; COMPUTE_PGM_RSRC2:TGID_X_EN: 1
; COMPUTE_PGM_RSRC2:TGID_Y_EN: 1
; COMPUTE_PGM_RSRC2:TGID_Z_EN: 0
; COMPUTE_PGM_RSRC2:TIDIG_COMP_CNT: 1
; COMPUTE_PGM_RSRC3_GFX90A:ACCUM_OFFSET: 14
; COMPUTE_PGM_RSRC3_GFX90A:TG_SPLIT: 0
	.section	.text._ZN2at6native12_GLOBAL__N_136ctc_loss_backward_collect_gpu_kernelIdiEEvPT_PKS3_lS6_S6_S6_PKllPKT0_S8_lS6_llllllllllllS8_llllb,"axG",@progbits,_ZN2at6native12_GLOBAL__N_136ctc_loss_backward_collect_gpu_kernelIdiEEvPT_PKS3_lS6_S6_S6_PKllPKT0_S8_lS6_llllllllllllS8_llllb,comdat
	.globl	_ZN2at6native12_GLOBAL__N_136ctc_loss_backward_collect_gpu_kernelIdiEEvPT_PKS3_lS6_S6_S6_PKllPKT0_S8_lS6_llllllllllllS8_llllb ; -- Begin function _ZN2at6native12_GLOBAL__N_136ctc_loss_backward_collect_gpu_kernelIdiEEvPT_PKS3_lS6_S6_S6_PKllPKT0_S8_lS6_llllllllllllS8_llllb
	.p2align	8
	.type	_ZN2at6native12_GLOBAL__N_136ctc_loss_backward_collect_gpu_kernelIdiEEvPT_PKS3_lS6_S6_S6_PKllPKT0_S8_lS6_llllllllllllS8_llllb,@function
_ZN2at6native12_GLOBAL__N_136ctc_loss_backward_collect_gpu_kernelIdiEEvPT_PKS3_lS6_S6_S6_PKllPKT0_S8_lS6_llllllllllllS8_llllb: ; @_ZN2at6native12_GLOBAL__N_136ctc_loss_backward_collect_gpu_kernelIdiEEvPT_PKS3_lS6_S6_S6_PKllPKT0_S8_lS6_llllllllllllS8_llllb
; %bb.0:
	s_load_dword s2, s[4:5], 0xfc
	s_load_dwordx2 s[0:1], s[4:5], 0x38
	s_load_dwordx8 s[24:31], s[4:5], 0xc8
	v_bfe_u32 v1, v0, 10, 10
	v_mov_b32_e32 v3, 0
	s_waitcnt lgkmcnt(0)
	s_lshr_b32 s3, s2, 16
	s_mul_i32 s7, s7, s3
	v_add_u32_e32 v2, s7, v1
	v_and_b32_e32 v0, 0x3ff, v0
	v_mov_b32_e32 v1, v3
	s_and_b32 s2, s2, 0xffff
	v_mov_b32_e32 v4, s6
	v_mad_u64_u32 v[0:1], s[2:3], s2, v4, v[0:1]
	v_cmp_gt_i64_e32 vcc, s[0:1], v[0:1]
	v_cmp_gt_i64_e64 s[0:1], s[26:27], v[2:3]
	s_and_b64 s[0:1], vcc, s[0:1]
	s_and_saveexec_b64 s[2:3], s[0:1]
	s_cbranch_execz .LBB10_15
; %bb.1:
	s_load_dwordx2 s[0:1], s[4:5], 0x30
	s_load_dwordx2 s[26:27], s[4:5], 0x50
	v_lshlrev_b64 v[8:9], 3, v[2:3]
	s_waitcnt lgkmcnt(0)
	v_mov_b32_e32 v3, s1
	v_add_co_u32_e32 v4, vcc, s0, v8
	v_addc_co_u32_e32 v5, vcc, v3, v9, vcc
	global_load_dwordx2 v[6:7], v[4:5], off
	s_load_dwordx16 s[8:23], s[4:5], 0x60
	s_load_dwordx2 s[6:7], s[4:5], 0x0
	s_waitcnt lgkmcnt(0)
	v_mad_u64_u32 v[4:5], s[0:1], v2, s10, 0
	v_mov_b32_e32 v10, v5
	v_mad_u64_u32 v[10:11], s[0:1], v2, s11, v[10:11]
	v_mov_b32_e32 v5, v10
	v_cmp_lt_i64_e64 s[0:1], s[26:27], 0
	s_mov_b64 s[10:11], 0
	s_and_b64 vcc, exec, s[0:1]
	v_mul_lo_u32 v3, v1, s8
	v_mul_lo_u32 v38, v0, s9
	v_lshlrev_b64 v[4:5], 3, v[4:5]
	s_cbranch_vccnz .LBB10_10
; %bb.2:
	s_load_dwordx2 s[34:35], s[4:5], 0xc0
	s_load_dwordx4 s[0:3], s[4:5], 0x40
	s_load_dwordx4 s[44:47], s[4:5], 0x18
	s_load_dwordx8 s[36:43], s[4:5], 0xa0
	v_mul_lo_u32 v21, v1, s22
	s_waitcnt lgkmcnt(0)
	v_mov_b32_e32 v11, s35
	v_add_co_u32_e32 v10, vcc, s34, v8
	v_addc_co_u32_e32 v11, vcc, v11, v9, vcc
	global_load_dwordx2 v[14:15], v[10:11], off
	v_mov_b32_e32 v11, s3
	v_add_co_u32_e32 v10, vcc, s2, v8
	v_addc_co_u32_e32 v11, vcc, v11, v9, vcc
	global_load_dwordx2 v[16:17], v[10:11], off
	s_lshl_b64 s[2:3], s[26:27], 1
	v_mad_u64_u32 v[10:11], s[26:27], v2, s20, 0
	v_mul_lo_u32 v22, v0, s23
	v_mad_u64_u32 v[12:13], s[22:23], v0, s22, 0
	v_mad_u64_u32 v[18:19], s[22:23], v0, s8, 0
	v_mov_b32_e32 v23, s7
	v_mov_b32_e32 v20, v11
	v_add3_u32 v13, v13, v22, v21
	v_add3_u32 v19, v19, v38, v3
	v_add_co_u32_e32 v22, vcc, s6, v4
	v_addc_co_u32_e32 v23, vcc, v23, v5, vcc
	v_mad_u64_u32 v[20:21], s[20:21], v2, s21, v[20:21]
	v_lshlrev_b64 v[18:19], 3, v[18:19]
	v_mov_b32_e32 v11, v20
	v_add_co_u32_e32 v39, vcc, v22, v18
	v_addc_co_u32_e32 v40, vcc, v23, v19, vcc
	v_lshlrev_b64 v[10:11], 3, v[10:11]
	v_mad_u64_u32 v[18:19], s[20:21], v2, s38, 0
	v_mov_b32_e32 v23, s45
	v_mov_b32_e32 v22, v19
	v_add_co_u32_e32 v10, vcc, s44, v10
	v_lshlrev_b64 v[12:13], 3, v[12:13]
	v_addc_co_u32_e32 v11, vcc, v23, v11, vcc
	v_mad_u64_u32 v[22:23], s[38:39], v2, s39, v[22:23]
	v_add_co_u32_e32 v10, vcc, v10, v12
	v_mov_b32_e32 v19, v22
	v_mul_lo_u32 v25, v1, s40
	v_mul_lo_u32 v26, v0, s41
	v_mad_u64_u32 v[20:21], s[20:21], v0, s40, 0
	v_addc_co_u32_e32 v11, vcc, v11, v13, vcc
	v_lshlrev_b64 v[18:19], 3, v[18:19]
	v_mov_b32_e32 v27, s47
	v_add3_u32 v21, v21, v26, v25
	v_add_co_u32_e32 v18, vcc, s46, v18
	v_lshlrev_b64 v[12:13], 3, v[20:21]
	v_addc_co_u32_e32 v19, vcc, v27, v19, vcc
	v_add_co_u32_e32 v12, vcc, v18, v12
	v_addc_co_u32_e32 v13, vcc, v19, v13, vcc
	s_mov_b32 s26, 0
	s_mov_b32 s34, 0x652b82fe
	v_mov_b32_e32 v24, s1
	s_lshl_b64 s[20:21], s[36:37], 3
	s_lshl_b64 s[36:37], s[42:43], 3
	s_mov_b32 s38, 0xfefa39ef
	s_mov_b32 s40, 0x3b39803f
	;; [unrolled: 1-line block ×11, first 2 shown]
	s_waitcnt vmcnt(1)
	v_lshlrev_b64 v[18:19], 2, v[14:15]
	v_add_co_u32_e32 v41, vcc, s0, v18
	s_mov_b32 s60, 11
	s_mov_b32 s62, 0
	;; [unrolled: 1-line block ×8, first 2 shown]
	s_waitcnt vmcnt(0)
	v_lshlrev_b64 v[14:15], 1, v[16:17]
	v_addc_co_u32_e32 v42, vcc, v24, v19, vcc
	s_mov_b32 s39, 0xbfe62e42
	s_mov_b32 s41, 0xbc7abc9e
	;; [unrolled: 1-line block ×18, first 2 shown]
	s_movk_i32 s9, 0x204
	v_mov_b32_e32 v43, 0x7ff00000
	v_mov_b32_e32 v16, 0
	;; [unrolled: 1-line block ×17, first 2 shown]
	s_branch .LBB10_5
.LBB10_3:                               ;   in Loop: Header=BB10_5 Depth=1
	s_or_b64 exec, exec, s[76:77]
	global_store_dwordx2 v[30:31], v[34:35], off
.LBB10_4:                               ;   in Loop: Header=BB10_5 Depth=1
	s_or_b64 exec, exec, s[74:75]
	v_mov_b32_e32 v17, s21
	v_add_co_u32_e32 v10, vcc, s20, v10
	s_add_u32 s10, s10, 1
	v_addc_co_u32_e32 v11, vcc, v11, v17, vcc
	s_addc_u32 s11, s11, 0
	v_mov_b32_e32 v17, s37
	v_add_co_u32_e32 v12, vcc, s36, v12
	v_addc_co_u32_e32 v13, vcc, v13, v17, vcc
	v_pk_mov_b32 v[30:31], s[10:11], s[10:11] op_sel:[0,1]
	v_cmp_lt_i64_e32 vcc, s[2:3], v[30:31]
	s_cbranch_vccnz .LBB10_10
.LBB10_5:                               ; =>This Inner Loop Header: Depth=1
	v_cmp_le_i64_e32 vcc, s[10:11], v[14:15]
	s_and_saveexec_b64 s[74:75], vcc
	s_cbranch_execz .LBB10_4
; %bb.6:                                ;   in Loop: Header=BB10_5 Depth=1
	s_and_b32 s22, s10, 1
	s_cmp_eq_u64 s[22:23], 0
	v_pk_mov_b32 v[30:31], s[30:31], s[30:31] op_sel:[0,1]
	s_cbranch_scc1 .LBB10_8
; %bb.7:                                ;   in Loop: Header=BB10_5 Depth=1
	v_mov_b32_e32 v17, s10
	v_alignbit_b32 v17, s11, v17, 1
	v_mul_lo_u32 v30, v17, s25
	v_mul_hi_u32 v31, v17, s24
	s_lshr_b32 s0, s11, 1
	v_add_u32_e32 v30, v31, v30
	s_mul_i32 s0, s0, s24
	v_add_u32_e32 v31, s0, v30
	v_mul_lo_u32 v30, v17, s24
	v_lshlrev_b64 v[30:31], 2, v[30:31]
	v_add_co_u32_e32 v30, vcc, v41, v30
	v_addc_co_u32_e32 v31, vcc, v42, v31, vcc
	global_load_dword v30, v[30:31], off
	s_waitcnt vmcnt(0)
	v_ashrrev_i32_e32 v31, 31, v30
.LBB10_8:                               ;   in Loop: Header=BB10_5 Depth=1
	v_mul_lo_u32 v17, v31, s12
	v_mul_lo_u32 v36, v30, s13
	v_mad_u64_u32 v[30:31], s[0:1], v30, s12, 0
	v_add3_u32 v31, v31, v36, v17
	v_lshlrev_b64 v[30:31], 3, v[30:31]
	v_add_co_u32_e32 v30, vcc, v39, v30
	v_addc_co_u32_e32 v31, vcc, v40, v31, vcc
	global_load_dwordx2 v[32:33], v[10:11], off
	global_load_dwordx2 v[34:35], v[12:13], off
	;; [unrolled: 1-line block ×3, first 2 shown]
	s_waitcnt vmcnt(1)
	v_add_f64 v[34:35], v[32:33], v[34:35]
	s_waitcnt vmcnt(0)
	v_cmp_neq_f64_e32 vcc, s[26:27], v[36:37]
	s_and_saveexec_b64 s[76:77], vcc
	s_cbranch_execz .LBB10_3
; %bb.9:                                ;   in Loop: Header=BB10_5 Depth=1
	v_cmp_gt_f64_e32 vcc, v[36:37], v[34:35]
	v_cndmask_b32_e32 v33, v35, v37, vcc
	v_cndmask_b32_e32 v32, v34, v36, vcc
	v_add_f64 v[36:37], v[36:37], -v[32:33]
	v_mul_f64 v[48:49], v[36:37], s[34:35]
	v_rndne_f64_e32 v[48:49], v[48:49]
	v_fma_f64 v[50:51], s[38:39], v[48:49], v[36:37]
	v_fmac_f64_e32 v[50:51], s[40:41], v[48:49]
	v_pk_mov_b32 v[52:53], s[42:43], s[42:43] op_sel:[0,1]
	v_fma_f64 v[54:55], s[44:45], v[50:51], v[52:53]
	v_fma_f64 v[54:55], v[50:51], v[54:55], s[46:47]
	;; [unrolled: 1-line block ×9, first 2 shown]
	v_fma_f64 v[54:55], v[50:51], v[54:55], 1.0
	v_fma_f64 v[50:51], v[50:51], v[54:55], 1.0
	v_cvt_i32_f64_e32 v17, v[48:49]
	v_ldexp_f64 v[48:49], v[50:51], v17
	v_cmp_nlt_f64_e32 vcc, s[62:63], v[36:37]
	v_cmp_ngt_f64_e64 s[0:1], s[64:65], v[36:37]
	v_cndmask_b32_e32 v17, v43, v49, vcc
	s_and_b64 vcc, s[0:1], vcc
	v_add_f64 v[34:35], v[34:35], -v[32:33]
	v_cndmask_b32_e32 v36, 0, v48, vcc
	v_mul_f64 v[48:49], v[34:35], s[34:35]
	v_rndne_f64_e32 v[48:49], v[48:49]
	v_fma_f64 v[50:51], s[38:39], v[48:49], v[34:35]
	v_fmac_f64_e32 v[50:51], s[40:41], v[48:49]
	v_fmac_f64_e32 v[52:53], s[44:45], v[50:51]
	v_fma_f64 v[52:53], v[50:51], v[52:53], s[46:47]
	v_fma_f64 v[52:53], v[50:51], v[52:53], s[48:49]
	;; [unrolled: 1-line block ×8, first 2 shown]
	v_fma_f64 v[52:53], v[50:51], v[52:53], 1.0
	v_cndmask_b32_e64 v37, 0, v17, s[0:1]
	v_fma_f64 v[50:51], v[50:51], v[52:53], 1.0
	v_cvt_i32_f64_e32 v17, v[48:49]
	v_ldexp_f64 v[48:49], v[50:51], v17
	v_cmp_nlt_f64_e32 vcc, s[62:63], v[34:35]
	v_cmp_ngt_f64_e64 s[0:1], s[64:65], v[34:35]
	v_cndmask_b32_e32 v17, v43, v49, vcc
	s_and_b64 vcc, s[0:1], vcc
	v_cndmask_b32_e64 v35, 0, v17, s[0:1]
	v_cndmask_b32_e32 v34, 0, v48, vcc
	v_add_f64 v[34:35], v[36:37], v[34:35]
	v_frexp_mant_f64_e32 v[36:37], v[34:35]
	v_cmp_gt_f64_e32 vcc, s[66:67], v[36:37]
	v_cndmask_b32_e64 v17, v44, 2.0, vcc
	v_mul_f64 v[36:37], v[36:37], v[16:17]
	v_add_f64 v[48:49], v[36:37], 1.0
	v_rcp_f64_e32 v[50:51], v[48:49]
	v_add_f64 v[54:55], v[48:49], -1.0
	v_add_f64 v[52:53], v[36:37], -1.0
	v_add_f64 v[36:37], v[36:37], -v[54:55]
	v_fma_f64 v[54:55], -v[48:49], v[50:51], 1.0
	v_fmac_f64_e32 v[50:51], v[54:55], v[50:51]
	v_fma_f64 v[54:55], -v[48:49], v[50:51], 1.0
	v_fmac_f64_e32 v[50:51], v[54:55], v[50:51]
	v_mul_f64 v[54:55], v[52:53], v[50:51]
	v_mul_f64 v[56:57], v[48:49], v[54:55]
	v_fma_f64 v[48:49], v[54:55], v[48:49], -v[56:57]
	v_fmac_f64_e32 v[48:49], v[54:55], v[36:37]
	v_add_f64 v[36:37], v[56:57], v[48:49]
	v_add_f64 v[58:59], v[52:53], -v[36:37]
	v_add_f64 v[56:57], v[36:37], -v[56:57]
	;; [unrolled: 1-line block ×5, first 2 shown]
	v_add_f64 v[36:37], v[48:49], v[36:37]
	v_add_f64 v[36:37], v[58:59], v[36:37]
	v_mul_f64 v[36:37], v[50:51], v[36:37]
	v_add_f64 v[48:49], v[54:55], v[36:37]
	v_add_f64 v[50:51], v[48:49], -v[54:55]
	v_add_f64 v[36:37], v[36:37], -v[50:51]
	v_mul_f64 v[50:51], v[48:49], v[48:49]
	v_pk_mov_b32 v[52:53], v[18:19], v[18:19] op_sel:[0,1]
	v_fmac_f64_e32 v[52:53], s[68:69], v[50:51]
	v_pk_mov_b32 v[54:55], v[20:21], v[20:21] op_sel:[0,1]
	v_fmac_f64_e32 v[54:55], v[50:51], v[52:53]
	v_pk_mov_b32 v[52:53], v[22:23], v[22:23] op_sel:[0,1]
	v_fmac_f64_e32 v[52:53], v[50:51], v[54:55]
	v_pk_mov_b32 v[54:55], v[24:25], v[24:25] op_sel:[0,1]
	v_fmac_f64_e32 v[54:55], v[50:51], v[52:53]
	v_pk_mov_b32 v[52:53], v[26:27], v[26:27] op_sel:[0,1]
	v_fmac_f64_e32 v[52:53], v[50:51], v[54:55]
	v_pk_mov_b32 v[54:55], v[28:29], v[28:29] op_sel:[0,1]
	v_fmac_f64_e32 v[54:55], v[50:51], v[52:53]
	v_ldexp_f64 v[52:53], v[48:49], 1
	v_mul_f64 v[48:49], v[48:49], v[50:51]
	v_mul_f64 v[48:49], v[48:49], v[54:55]
	v_add_f64 v[50:51], v[52:53], v[48:49]
	v_add_f64 v[52:53], v[50:51], -v[52:53]
	v_ldexp_f64 v[36:37], v[36:37], 1
	v_add_f64 v[48:49], v[48:49], -v[52:53]
	v_add_f64 v[36:37], v[36:37], v[48:49]
	v_frexp_exp_i32_f64_e32 v47, v[34:35]
	v_add_f64 v[48:49], v[50:51], v[36:37]
	v_subbrev_co_u32_e32 v17, vcc, 0, v47, vcc
	v_add_f64 v[50:51], v[48:49], -v[50:51]
	v_add_f64 v[36:37], v[36:37], -v[50:51]
	v_cvt_f64_i32_e32 v[50:51], v17
	s_mov_b32 s70, s38
	v_mul_f64 v[52:53], v[50:51], s[70:71]
	v_fma_f64 v[54:55], v[50:51], s[70:71], -v[52:53]
	s_mov_b32 s72, s40
	v_fmac_f64_e32 v[54:55], s[72:73], v[50:51]
	v_add_f64 v[50:51], v[52:53], v[54:55]
	v_add_f64 v[52:53], v[50:51], -v[52:53]
	v_add_f64 v[52:53], v[54:55], -v[52:53]
	v_add_f64 v[54:55], v[50:51], v[48:49]
	v_add_f64 v[56:57], v[54:55], -v[50:51]
	v_add_f64 v[58:59], v[54:55], -v[56:57]
	;; [unrolled: 1-line block ×4, first 2 shown]
	v_add_f64 v[48:49], v[48:49], v[50:51]
	v_add_f64 v[50:51], v[52:53], v[36:37]
	v_add_f64 v[56:57], v[50:51], -v[52:53]
	v_add_f64 v[58:59], v[50:51], -v[56:57]
	v_add_f64 v[48:49], v[50:51], v[48:49]
	v_add_f64 v[52:53], v[52:53], -v[58:59]
	v_add_f64 v[36:37], v[36:37], -v[56:57]
	v_add_f64 v[50:51], v[54:55], v[48:49]
	v_add_f64 v[36:37], v[36:37], v[52:53]
	v_add_f64 v[52:53], v[50:51], -v[54:55]
	v_add_f64 v[48:49], v[48:49], -v[52:53]
	v_add_f64 v[36:37], v[36:37], v[48:49]
	v_add_f64 v[36:37], v[50:51], v[36:37]
	v_cmp_class_f64_e64 vcc, v[34:35], s9
	v_cndmask_b32_e32 v17, v36, v34, vcc
	v_cndmask_b32_e32 v36, v37, v35, vcc
	v_cmp_ngt_f64_e32 vcc, 0, v[34:35]
	v_cndmask_b32_e32 v37, v45, v36, vcc
	v_cmp_nge_f64_e32 vcc, 0, v[34:35]
	v_cndmask_b32_e32 v36, 0, v17, vcc
	v_cmp_neq_f64_e32 vcc, 0, v[34:35]
	v_cndmask_b32_e32 v37, v46, v37, vcc
	v_add_f64 v[34:35], v[32:33], v[36:37]
	s_branch .LBB10_3
.LBB10_10:
	v_cmp_lt_i64_e64 s[0:1], s[28:29], 1
	s_and_b64 vcc, exec, s[0:1]
	s_cbranch_vccnz .LBB10_15
; %bb.11:
	s_load_dwordx2 s[10:11], s[4:5], 0x58
	s_load_dwordx4 s[0:3], s[4:5], 0x8
	s_load_dword s33, s[4:5], 0xe8
	s_load_dwordx2 s[34:35], s[4:5], 0x28
	v_mul_lo_u32 v17, v0, s15
	s_waitcnt lgkmcnt(0)
	v_mov_b32_e32 v10, s11
	v_add_co_u32_e32 v8, vcc, s10, v8
	v_addc_co_u32_e32 v9, vcc, v10, v9, vcc
	v_mad_u64_u32 v[10:11], s[4:5], v2, s2, 0
	v_mov_b32_e32 v12, v11
	v_mad_u64_u32 v[12:13], s[2:3], v2, s3, v[12:13]
	v_mov_b32_e32 v11, v12
	global_load_dwordx2 v[8:9], v[8:9], off
	v_lshlrev_b64 v[10:11], 3, v[10:11]
	v_mov_b32_e32 v12, s1
	v_add_co_u32_e32 v10, vcc, s0, v10
	v_addc_co_u32_e32 v11, vcc, v12, v11, vcc
	global_load_dwordx2 v[10:11], v[10:11], off
	v_mad_u64_u32 v[12:13], s[0:1], v2, s16, 0
	v_mad_u64_u32 v[14:15], s[0:1], v0, s8, 0
	s_waitcnt vmcnt(2)
	v_cmp_lt_i64_e32 vcc, v[0:1], v[6:7]
	v_mul_lo_u32 v7, v1, s14
	v_mad_u64_u32 v[0:1], s[0:1], v0, s14, 0
	v_mov_b32_e32 v16, s7
	v_mov_b32_e32 v6, v13
	v_add3_u32 v15, v15, v38, v3
	v_add_co_u32_e64 v18, s[0:1], s6, v4
	v_addc_co_u32_e64 v16, s[0:1], v16, v5, s[0:1]
	v_add3_u32 v1, v1, v17, v7
	v_mad_u64_u32 v[2:3], s[0:1], v2, s17, v[6:7]
	v_lshlrev_b64 v[4:5], 3, v[14:15]
	v_lshlrev_b64 v[6:7], 3, v[0:1]
	v_mov_b32_e32 v13, v2
	v_add_co_u32_e64 v0, s[0:1], v18, v4
	v_addc_co_u32_e64 v1, s[0:1], v16, v5, s[0:1]
	v_lshlrev_b64 v[2:3], 3, v[12:13]
	v_mov_b32_e32 v4, s35
	v_add_co_u32_e64 v2, s[0:1], s34, v2
	v_addc_co_u32_e64 v3, s[0:1], v4, v3, s[0:1]
	s_mov_b32 s36, 0
	s_bitcmp1_b32 s33, 0
	v_add_co_u32_e64 v2, s[0:1], v2, v6
	s_mov_b32 s37, 0x7ff00000
	s_cselect_b64 s[16:17], -1, 0
	v_addc_co_u32_e64 v3, s[0:1], v3, v7, s[0:1]
	s_xor_b64 s[16:17], s[16:17], -1
	s_mov_b32 s2, 0x652b82fe
	s_mov_b32 s4, 0xfefa39ef
	s_mov_b32 s8, 0x3b39803f
	s_mov_b32 s10, 0xfca7ab0c
	s_mov_b32 s14, 0x6a5dcb37
	s_mov_b32 s20, 0x623fde64
	s_mov_b32 s22, 0x7c89e6b0
	s_mov_b32 s24, 0x14761f6e
	s_mov_b32 s26, 0x1852b7b0
	s_mov_b32 s30, 0x11122322
	s_lshl_b64 s[6:7], s[18:19], 3
	s_mov_b32 s18, 0x555502a1
	s_mov_b32 s34, 0x55555511
	s_mov_b32 s38, 0
	s_mov_b32 s40, 0
	s_mov_b32 s3, 0x3ff71547
	s_mov_b32 s5, 0xbfe62e42
	s_mov_b32 s9, 0xbc7abc9e
	s_mov_b32 s11, 0x3e928af3
	s_mov_b32 s15, 0x3e5ade15
	s_mov_b32 s21, 0x3ec71dee
	s_mov_b32 s23, 0x3efa0199
	s_mov_b32 s25, 0x3f2a01a0
	s_mov_b32 s27, 0x3f56c16c
	s_mov_b32 s31, 0x3f811111
	s_lshl_b64 s[12:13], s[12:13], 3
	s_mov_b32 s19, 0x3fa55555
	s_mov_b32 s35, 0x3fc55555
	;; [unrolled: 1-line block ×4, first 2 shown]
	v_mov_b32_e32 v6, 0x7ff00000
	s_waitcnt vmcnt(1)
	v_cmp_neq_f64_e64 s[0:1], s[36:37], v[8:9]
	s_or_b64 s[0:1], s[16:17], s[0:1]
	s_mov_b32 s36, 11
	s_and_b64 s[16:17], vcc, s[0:1]
	s_mov_b32 s37, 0x3fe00000
	s_branch .LBB10_13
.LBB10_12:                              ;   in Loop: Header=BB10_13 Depth=1
	s_or_b64 exec, exec, s[42:43]
	global_store_dwordx2 v[0:1], v[4:5], off
	v_mov_b32_e32 v4, s7
	v_add_co_u32_e32 v2, vcc, s6, v2
	s_add_u32 s28, s28, -1
	v_addc_co_u32_e32 v3, vcc, v3, v4, vcc
	s_addc_u32 s29, s29, -1
	v_mov_b32_e32 v4, s13
	v_add_co_u32_e32 v0, vcc, s12, v0
	s_cmp_lg_u64 s[28:29], 0
	v_addc_co_u32_e32 v1, vcc, v1, v4, vcc
	s_cbranch_scc0 .LBB10_15
.LBB10_13:                              ; =>This Inner Loop Header: Depth=1
	v_pk_mov_b32 v[4:5], 0, 0
	s_and_saveexec_b64 s[42:43], s[16:17]
	s_cbranch_execz .LBB10_12
; %bb.14:                               ;   in Loop: Header=BB10_13 Depth=1
	global_load_dwordx2 v[4:5], v[2:3], off
	global_load_dwordx2 v[12:13], v[0:1], off
	v_pk_mov_b32 v[14:15], s[10:11], s[10:11] op_sel:[0,1]
	s_waitcnt vmcnt(1)
	v_mul_f64 v[16:17], v[4:5], s[2:3]
	s_waitcnt vmcnt(0)
	v_add_f64 v[12:13], v[8:9], v[12:13]
	v_rndne_f64_e32 v[16:17], v[16:17]
	v_add_f64 v[12:13], v[12:13], -v[4:5]
	v_fma_f64 v[18:19], s[4:5], v[16:17], v[4:5]
	v_mul_f64 v[20:21], v[12:13], s[2:3]
	v_cvt_i32_f64_e32 v7, v[16:17]
	v_fmac_f64_e32 v[18:19], s[8:9], v[16:17]
	v_rndne_f64_e32 v[16:17], v[20:21]
	v_fma_f64 v[20:21], s[14:15], v[18:19], v[14:15]
	v_fma_f64 v[22:23], s[4:5], v[16:17], v[12:13]
	v_fma_f64 v[20:21], v[18:19], v[20:21], s[20:21]
	v_fmac_f64_e32 v[22:23], s[8:9], v[16:17]
	v_cvt_i32_f64_e32 v24, v[16:17]
	v_fma_f64 v[16:17], v[18:19], v[20:21], s[22:23]
	v_fmac_f64_e32 v[14:15], s[14:15], v[22:23]
	v_fma_f64 v[16:17], v[18:19], v[16:17], s[24:25]
	v_fma_f64 v[14:15], v[22:23], v[14:15], s[20:21]
	;; [unrolled: 1-line block ×12, first 2 shown]
	v_fma_f64 v[16:17], v[18:19], v[16:17], 1.0
	v_fma_f64 v[14:15], v[22:23], v[14:15], s[34:35]
	v_fma_f64 v[16:17], v[18:19], v[16:17], 1.0
	v_fma_f64 v[14:15], v[22:23], v[14:15], s[36:37]
	v_ldexp_f64 v[16:17], v[16:17], v7
	v_fma_f64 v[14:15], v[22:23], v[14:15], 1.0
	v_cmp_nlt_f64_e32 vcc, s[38:39], v[4:5]
	v_cmp_ngt_f64_e64 s[0:1], s[40:41], v[4:5]
	v_cndmask_b32_e32 v7, v6, v17, vcc
	v_fma_f64 v[14:15], v[22:23], v[14:15], 1.0
	s_and_b64 vcc, s[0:1], vcc
	v_cndmask_b32_e64 v5, 0, v7, s[0:1]
	v_cndmask_b32_e32 v4, 0, v16, vcc
	v_ldexp_f64 v[14:15], v[14:15], v24
	v_cmp_nlt_f64_e32 vcc, s[38:39], v[12:13]
	v_cmp_ngt_f64_e64 s[0:1], s[40:41], v[12:13]
	v_cndmask_b32_e32 v7, v6, v15, vcc
	s_and_b64 vcc, s[0:1], vcc
	v_cndmask_b32_e64 v13, 0, v7, s[0:1]
	v_cndmask_b32_e32 v12, 0, v14, vcc
	v_add_f64 v[4:5], v[4:5], -v[12:13]
	v_mul_f64 v[4:5], v[10:11], v[4:5]
	s_branch .LBB10_12
.LBB10_15:
	s_endpgm
	.section	.rodata,"a",@progbits
	.p2align	6, 0x0
	.amdhsa_kernel _ZN2at6native12_GLOBAL__N_136ctc_loss_backward_collect_gpu_kernelIdiEEvPT_PKS3_lS6_S6_S6_PKllPKT0_S8_lS6_llllllllllllS8_llllb
		.amdhsa_group_segment_fixed_size 0
		.amdhsa_private_segment_fixed_size 0
		.amdhsa_kernarg_size 496
		.amdhsa_user_sgpr_count 6
		.amdhsa_user_sgpr_private_segment_buffer 1
		.amdhsa_user_sgpr_dispatch_ptr 0
		.amdhsa_user_sgpr_queue_ptr 0
		.amdhsa_user_sgpr_kernarg_segment_ptr 1
		.amdhsa_user_sgpr_dispatch_id 0
		.amdhsa_user_sgpr_flat_scratch_init 0
		.amdhsa_user_sgpr_kernarg_preload_length 0
		.amdhsa_user_sgpr_kernarg_preload_offset 0
		.amdhsa_user_sgpr_private_segment_size 0
		.amdhsa_uses_dynamic_stack 0
		.amdhsa_system_sgpr_private_segment_wavefront_offset 0
		.amdhsa_system_sgpr_workgroup_id_x 1
		.amdhsa_system_sgpr_workgroup_id_y 1
		.amdhsa_system_sgpr_workgroup_id_z 0
		.amdhsa_system_sgpr_workgroup_info 0
		.amdhsa_system_vgpr_workitem_id 1
		.amdhsa_next_free_vgpr 60
		.amdhsa_next_free_sgpr 78
		.amdhsa_accum_offset 60
		.amdhsa_reserve_vcc 1
		.amdhsa_reserve_flat_scratch 0
		.amdhsa_float_round_mode_32 0
		.amdhsa_float_round_mode_16_64 0
		.amdhsa_float_denorm_mode_32 3
		.amdhsa_float_denorm_mode_16_64 3
		.amdhsa_dx10_clamp 1
		.amdhsa_ieee_mode 1
		.amdhsa_fp16_overflow 0
		.amdhsa_tg_split 0
		.amdhsa_exception_fp_ieee_invalid_op 0
		.amdhsa_exception_fp_denorm_src 0
		.amdhsa_exception_fp_ieee_div_zero 0
		.amdhsa_exception_fp_ieee_overflow 0
		.amdhsa_exception_fp_ieee_underflow 0
		.amdhsa_exception_fp_ieee_inexact 0
		.amdhsa_exception_int_div_zero 0
	.end_amdhsa_kernel
	.section	.text._ZN2at6native12_GLOBAL__N_136ctc_loss_backward_collect_gpu_kernelIdiEEvPT_PKS3_lS6_S6_S6_PKllPKT0_S8_lS6_llllllllllllS8_llllb,"axG",@progbits,_ZN2at6native12_GLOBAL__N_136ctc_loss_backward_collect_gpu_kernelIdiEEvPT_PKS3_lS6_S6_S6_PKllPKT0_S8_lS6_llllllllllllS8_llllb,comdat
.Lfunc_end10:
	.size	_ZN2at6native12_GLOBAL__N_136ctc_loss_backward_collect_gpu_kernelIdiEEvPT_PKS3_lS6_S6_S6_PKllPKT0_S8_lS6_llllllllllllS8_llllb, .Lfunc_end10-_ZN2at6native12_GLOBAL__N_136ctc_loss_backward_collect_gpu_kernelIdiEEvPT_PKS3_lS6_S6_S6_PKllPKT0_S8_lS6_llllllllllllS8_llllb
                                        ; -- End function
	.section	.AMDGPU.csdata,"",@progbits
; Kernel info:
; codeLenInByte = 3336
; NumSgprs: 82
; NumVgprs: 60
; NumAgprs: 0
; TotalNumVgprs: 60
; ScratchSize: 0
; MemoryBound: 0
; FloatMode: 240
; IeeeMode: 1
; LDSByteSize: 0 bytes/workgroup (compile time only)
; SGPRBlocks: 10
; VGPRBlocks: 7
; NumSGPRsForWavesPerEU: 82
; NumVGPRsForWavesPerEU: 60
; AccumOffset: 60
; Occupancy: 7
; WaveLimiterHint : 1
; COMPUTE_PGM_RSRC2:SCRATCH_EN: 0
; COMPUTE_PGM_RSRC2:USER_SGPR: 6
; COMPUTE_PGM_RSRC2:TRAP_HANDLER: 0
; COMPUTE_PGM_RSRC2:TGID_X_EN: 1
; COMPUTE_PGM_RSRC2:TGID_Y_EN: 1
; COMPUTE_PGM_RSRC2:TGID_Z_EN: 0
; COMPUTE_PGM_RSRC2:TIDIG_COMP_CNT: 1
; COMPUTE_PGM_RSRC3_GFX90A:ACCUM_OFFSET: 14
; COMPUTE_PGM_RSRC3_GFX90A:TG_SPLIT: 0
	.section	.text._ZN2at6native12_GLOBAL__N_137ctc_loss_backward_log_beta_gpu_kernelIflEEvPT_PKS3_PKllPKT0_S8_lllllllS8_lll,"axG",@progbits,_ZN2at6native12_GLOBAL__N_137ctc_loss_backward_log_beta_gpu_kernelIflEEvPT_PKS3_PKllPKT0_S8_lllllllS8_lll,comdat
	.globl	_ZN2at6native12_GLOBAL__N_137ctc_loss_backward_log_beta_gpu_kernelIflEEvPT_PKS3_PKllPKT0_S8_lllllllS8_lll ; -- Begin function _ZN2at6native12_GLOBAL__N_137ctc_loss_backward_log_beta_gpu_kernelIflEEvPT_PKS3_PKllPKT0_S8_lllllllS8_lll
	.p2align	8
	.type	_ZN2at6native12_GLOBAL__N_137ctc_loss_backward_log_beta_gpu_kernelIflEEvPT_PKS3_PKllPKT0_S8_lllllllS8_lll,@function
_ZN2at6native12_GLOBAL__N_137ctc_loss_backward_log_beta_gpu_kernelIflEEvPT_PKS3_PKllPKT0_S8_lllllllS8_lll: ; @_ZN2at6native12_GLOBAL__N_137ctc_loss_backward_log_beta_gpu_kernelIflEEvPT_PKS3_PKllPKT0_S8_lllllllS8_lll
; %bb.0:
	s_load_dword s2, s[4:5], 0x94
	s_load_dwordx4 s[24:27], s[4:5], 0x70
	s_add_u32 s0, s4, 0x88
	s_addc_u32 s1, s5, 0
	v_bfe_u32 v1, v0, 10, 10
	s_waitcnt lgkmcnt(0)
	s_lshr_b32 s2, s2, 16
	s_mul_i32 s7, s7, s2
	v_add_u32_e32 v12, s7, v1
	v_mov_b32_e32 v13, 0
	v_cmp_gt_i64_e32 vcc, s[26:27], v[12:13]
	s_and_saveexec_b64 s[2:3], vcc
	s_cbranch_execz .LBB11_43
; %bb.1:
	s_load_dwordx2 s[2:3], s[4:5], 0x10
	v_lshlrev_b64 v[4:5], 3, v[12:13]
	s_waitcnt lgkmcnt(0)
	v_mov_b32_e32 v1, s3
	v_add_co_u32_e32 v2, vcc, s2, v4
	v_addc_co_u32_e32 v3, vcc, v1, v5, vcc
	global_load_dwordx2 v[2:3], v[2:3], off
	s_waitcnt vmcnt(0)
	v_cmp_ne_u64_e32 vcc, 0, v[2:3]
	s_and_b64 exec, exec, vcc
	s_cbranch_execz .LBB11_43
; %bb.2:
	s_load_dwordx2 s[2:3], s[4:5], 0x28
	s_load_dwordx2 s[6:7], s[4:5], 0x68
	s_waitcnt lgkmcnt(0)
	v_mov_b32_e32 v1, s3
	v_add_co_u32_e32 v6, vcc, s2, v4
	v_addc_co_u32_e32 v7, vcc, v1, v5, vcc
	v_mov_b32_e32 v1, s7
	v_add_co_u32_e32 v4, vcc, s6, v4
	v_addc_co_u32_e32 v5, vcc, v1, v5, vcc
	global_load_dwordx2 v[14:15], v[6:7], off
	s_nop 0
	global_load_dwordx2 v[6:7], v[4:5], off
	s_load_dwordx8 s[8:15], s[4:5], 0x30
	s_load_dword s2, s[0:1], 0xc
	s_mov_b32 s0, 0
	s_waitcnt lgkmcnt(0)
	s_lshl_b64 s[26:27], s[8:9], 1
	s_and_b32 s33, s2, 0xffff
	s_mov_b32 s1, s27
	s_cmp_lg_u64 s[0:1], 0
	s_cbranch_scc0 .LBB11_44
; %bb.3:
	v_cvt_f32_u32_e32 v1, s33
	v_cvt_f32_ubyte0_e32 v4, 0
	s_sub_u32 s2, 0, s33
	s_subb_u32 s3, 0, 0
	v_madmk_f32 v1, v4, 0x4f800000, v1
	v_rcp_f32_e32 v1, v1
	v_mul_f32_e32 v1, 0x5f7ffffc, v1
	v_mul_f32_e32 v4, 0x2f800000, v1
	v_trunc_f32_e32 v4, v4
	v_madmk_f32 v1, v4, 0xcf800000, v1
	v_cvt_u32_f32_e32 v4, v4
	v_cvt_u32_f32_e32 v1, v1
	v_readfirstlane_b32 s6, v4
	v_readfirstlane_b32 s7, v1
	s_mul_i32 s8, s2, s6
	s_mul_hi_u32 s16, s2, s7
	s_mul_i32 s9, s3, s7
	s_add_i32 s8, s16, s8
	s_add_i32 s8, s8, s9
	s_mul_i32 s17, s2, s7
	s_mul_hi_u32 s9, s7, s8
	s_mul_i32 s16, s7, s8
	s_mul_hi_u32 s7, s7, s17
	s_add_u32 s7, s7, s16
	s_addc_u32 s9, 0, s9
	s_mul_hi_u32 s18, s6, s17
	s_mul_i32 s17, s6, s17
	s_add_u32 s7, s7, s17
	s_mul_hi_u32 s16, s6, s8
	s_addc_u32 s7, s9, s18
	s_addc_u32 s9, s16, 0
	s_mul_i32 s8, s6, s8
	s_add_u32 s7, s7, s8
	s_addc_u32 s8, 0, s9
	v_add_co_u32_e32 v1, vcc, s7, v1
	s_cmp_lg_u64 vcc, 0
	s_addc_u32 s6, s6, s8
	v_readfirstlane_b32 s8, v1
	s_mul_i32 s7, s2, s6
	s_mul_hi_u32 s9, s2, s8
	s_add_i32 s7, s9, s7
	s_mul_i32 s3, s3, s8
	s_add_i32 s7, s7, s3
	s_mul_i32 s2, s2, s8
	s_mul_hi_u32 s9, s6, s2
	s_mul_i32 s16, s6, s2
	s_mul_i32 s18, s8, s7
	s_mul_hi_u32 s2, s8, s2
	s_mul_hi_u32 s17, s8, s7
	s_add_u32 s2, s2, s18
	s_addc_u32 s8, 0, s17
	s_add_u32 s2, s2, s16
	s_mul_hi_u32 s3, s6, s7
	s_addc_u32 s2, s8, s9
	s_addc_u32 s3, s3, 0
	s_mul_i32 s7, s6, s7
	s_add_u32 s2, s2, s7
	s_addc_u32 s3, 0, s3
	v_add_co_u32_e32 v1, vcc, s2, v1
	s_cmp_lg_u64 vcc, 0
	s_addc_u32 s8, s6, s3
	s_ashr_i32 s2, s27, 31
	s_add_u32 s6, s26, s2
	s_mov_b32 s3, s2
	s_addc_u32 s7, s27, s2
	s_xor_b64 s[6:7], s[6:7], s[2:3]
	v_readfirstlane_b32 s16, v1
	s_mul_i32 s9, s6, s8
	s_mul_hi_u32 s17, s6, s16
	s_mul_hi_u32 s3, s6, s8
	s_add_u32 s9, s17, s9
	s_addc_u32 s3, 0, s3
	s_mul_hi_u32 s18, s7, s16
	s_mul_i32 s16, s7, s16
	s_add_u32 s9, s9, s16
	s_mul_hi_u32 s17, s7, s8
	s_addc_u32 s3, s3, s18
	s_addc_u32 s9, s17, 0
	s_mul_i32 s8, s7, s8
	s_add_u32 s3, s3, s8
	s_addc_u32 s8, 0, s9
	s_mul_hi_u32 s9, s33, s3
	s_mul_i32 s3, s33, s3
	s_mul_i32 s8, s33, s8
	v_mov_b32_e32 v1, s3
	s_add_i32 s9, s9, s8
	v_sub_co_u32_e32 v1, vcc, s6, v1
	s_cmp_lg_u64 vcc, 0
	s_subb_u32 s3, s7, s9
	v_subrev_co_u32_e32 v4, vcc, s33, v1
	s_cmp_lg_u64 vcc, 0
	s_subb_u32 s6, s3, 0
	v_subrev_co_u32_e32 v5, vcc, s33, v4
	s_cmp_lg_u64 vcc, 0
	s_subb_u32 s7, s6, 0
	v_cmp_le_u32_e32 vcc, s33, v4
	s_cmp_eq_u32 s6, 0
	v_cndmask_b32_e64 v8, 0, -1, vcc
	s_cselect_b64 vcc, -1, 0
	v_cndmask_b32_e32 v8, -1, v8, vcc
	v_mov_b32_e32 v9, s6
	v_mov_b32_e32 v10, s7
	v_cmp_ne_u32_e32 vcc, 0, v8
	v_cndmask_b32_e32 v8, v9, v10, vcc
	v_cndmask_b32_e32 v4, v4, v5, vcc
	v_cmp_le_u32_e32 vcc, s33, v1
	s_cmp_eq_u32 s3, 0
	v_cndmask_b32_e64 v5, 0, -1, vcc
	s_cselect_b64 vcc, -1, 0
	v_cndmask_b32_e32 v5, -1, v5, vcc
	v_cmp_ne_u32_e32 vcc, 0, v5
	v_mov_b32_e32 v9, s3
	v_cndmask_b32_e32 v1, v1, v4, vcc
	v_cndmask_b32_e32 v5, v9, v8, vcc
	v_xor_b32_e32 v1, s2, v1
	v_xor_b32_e32 v4, s2, v5
	v_mov_b32_e32 v5, s2
	v_subrev_co_u32_e32 v20, vcc, s2, v1
	v_subb_co_u32_e32 v21, vcc, v4, v5, vcc
	s_cbranch_execnz .LBB11_5
.LBB11_4:
	v_cvt_f32_u32_e32 v1, s33
	s_sub_i32 s0, 0, s33
	s_mov_b32 s1, 0
	v_rcp_iflag_f32_e32 v1, v1
	v_mul_f32_e32 v1, 0x4f7ffffe, v1
	v_cvt_u32_f32_e32 v1, v1
	v_readfirstlane_b32 s2, v1
	s_mul_i32 s0, s0, s2
	s_mul_hi_u32 s0, s2, s0
	s_add_i32 s2, s2, s0
	s_mul_hi_u32 s0, s26, s2
	s_mul_i32 s0, s0, s33
	s_sub_i32 s0, s26, s0
	s_sub_i32 s2, s0, s33
	s_cmp_ge_u32 s0, s33
	s_cselect_b32 s0, s2, s0
	s_sub_i32 s2, s0, s33
	s_cmp_ge_u32 s0, s33
	s_cselect_b32 s0, s2, s0
	v_pk_mov_b32 v[20:21], s[0:1], s[0:1] op_sel:[0,1]
.LBB11_5:
	v_mov_b32_e32 v1, s27
	v_sub_co_u32_e32 v4, vcc, s26, v20
	v_subb_co_u32_e32 v5, vcc, v1, v21, vcc
	v_cmp_gt_i64_e32 vcc, 0, v[4:5]
	s_cbranch_vccnz .LBB11_43
; %bb.6:
	s_load_dwordx2 s[0:1], s[4:5], 0x20
	s_load_dwordx4 s[28:31], s[4:5], 0x0
	s_load_dwordx2 s[34:35], s[4:5], 0x80
	s_load_dwordx8 s[16:23], s[4:5], 0x50
	s_waitcnt vmcnt(0)
	v_lshlrev_b64 v[6:7], 3, v[6:7]
	s_waitcnt lgkmcnt(0)
	v_mov_b32_e32 v8, s1
	v_add_co_u32_e32 v1, vcc, s0, v6
	v_mad_u64_u32 v[16:17], s[0:1], v12, s12, 0
	v_mov_b32_e32 v6, v17
	v_addc_co_u32_e32 v36, vcc, v8, v7, vcc
	v_mad_u64_u32 v[6:7], s[0:1], v12, s13, v[6:7]
	v_mov_b32_e32 v17, v6
	v_lshlrev_b64 v[6:7], 1, v[14:15]
	v_add_co_u32_e32 v8, vcc, -1, v6
	v_addc_co_u32_e32 v9, vcc, -1, v7, vcc
	v_add_co_u32_e32 v10, vcc, -1, v2
	v_addc_co_u32_e32 v11, vcc, -1, v3, vcc
	v_mul_lo_u32 v13, v11, s10
	v_mul_lo_u32 v22, v10, s11
	v_mad_u64_u32 v[18:19], s[0:1], v10, s10, 0
	v_lshlrev_b64 v[16:17], 2, v[16:17]
	v_add3_u32 v19, v19, v22, v13
	v_mov_b32_e32 v13, s31
	v_add_co_u32_e32 v22, vcc, s30, v16
	v_addc_co_u32_e32 v13, vcc, v13, v17, vcc
	v_lshlrev_b64 v[18:19], 2, v[18:19]
	v_add_co_u32_e32 v34, vcc, v22, v18
	v_addc_co_u32_e32 v35, vcc, v13, v19, vcc
	v_alignbit_b32 v13, v9, v8, 1
	v_mul_lo_u32 v22, v13, s25
	v_mad_u64_u32 v[18:19], s[0:1], v13, s24, 0
	v_lshrrev_b32_e32 v13, 1, v9
	v_mul_lo_u32 v13, v13, s24
	v_add3_u32 v19, v19, v22, v13
	v_lshlrev_b64 v[18:19], 3, v[18:19]
	v_add_co_u32_e32 v18, vcc, v1, v18
	v_and_b32_e32 v0, 0x3ff, v0
	v_addc_co_u32_e32 v19, vcc, v36, v19, vcc
	v_mov_b32_e32 v13, s27
	v_add_co_u32_e32 v22, vcc, s26, v0
	v_addc_co_u32_e32 v13, vcc, 0, v13, vcc
	v_sub_co_u32_e32 v22, vcc, v22, v20
	v_subb_co_u32_e32 v23, vcc, v13, v21, vcc
	v_mul_lo_u32 v13, s21, v22
	v_mul_lo_u32 v24, s20, v23
	v_mad_u64_u32 v[20:21], s[0:1], s20, v22, 0
	v_add3_u32 v21, v21, v24, v13
	v_mul_lo_u32 v13, s19, v10
	v_mul_lo_u32 v26, s18, v11
	v_mad_u64_u32 v[24:25], s[0:1], s18, v10, 0
	v_add3_u32 v25, v25, v26, v13
	v_lshlrev_b64 v[20:21], 2, v[20:21]
	v_lshlrev_b64 v[24:25], 2, v[24:25]
	v_add_co_u32_e32 v27, vcc, v20, v24
	v_addc_co_u32_e32 v28, vcc, v21, v25, vcc
	v_mad_u64_u32 v[24:25], s[0:1], s16, v12, 0
	v_mov_b32_e32 v26, v25
	v_mad_u64_u32 v[12:13], s[0:1], s17, v12, v[26:27]
	v_mov_b32_e32 v25, v12
	v_lshlrev_b64 v[12:13], 2, v[24:25]
	v_add_co_u32_e32 v24, vcc, v27, v12
	v_addc_co_u32_e32 v25, vcc, v28, v13, vcc
	v_mov_b32_e32 v26, s29
	v_add_co_u32_e32 v24, vcc, s28, v24
	v_addc_co_u32_e32 v25, vcc, v26, v25, vcc
	s_mul_i32 s0, s21, s33
	s_mul_hi_u32 s1, s20, s33
	s_add_i32 s1, s1, s0
	s_mul_i32 s0, s20, s33
	v_sub_co_u32_e32 v26, vcc, v6, v0
	s_lshl_b64 s[0:1], s[0:1], 2
	v_subbrev_co_u32_e32 v27, vcc, 0, v7, vcc
	s_sub_u32 s40, 0, s0
	v_add_co_u32_e32 v28, vcc, -1, v26
	s_subb_u32 s41, 0, s1
	v_addc_co_u32_e32 v29, vcc, -1, v27, vcc
	v_pk_mov_b32 v[30:31], v[4:5], v[4:5] op_sel:[0,1]
	s_branch .LBB11_8
.LBB11_7:                               ;   in Loop: Header=BB11_8 Depth=1
	s_or_b64 exec, exec, s[0:1]
	v_subrev_co_u32_e32 v30, vcc, s33, v30
	v_subbrev_co_u32_e32 v31, vcc, 0, v31, vcc
	v_mov_b32_e32 v32, s41
	v_add_co_u32_e32 v24, vcc, s40, v24
	v_addc_co_u32_e32 v25, vcc, v25, v32, vcc
	v_cmp_gt_i64_e32 vcc, 0, v[30:31]
	s_cbranch_vccnz .LBB11_16
.LBB11_8:                               ; =>This Inner Loop Header: Depth=1
	v_cmp_ne_u64_e32 vcc, v[26:27], v[30:31]
	v_pk_mov_b32 v[32:33], s[34:35], s[34:35] op_sel:[0,1]
	s_mov_b64 s[2:3], -1
                                        ; implicit-def: $sgpr6
	s_and_saveexec_b64 s[0:1], vcc
	s_cbranch_execz .LBB11_12
; %bb.9:                                ;   in Loop: Header=BB11_8 Depth=1
	v_cmp_eq_u64_e32 vcc, v[28:29], v[30:31]
	s_mov_b64 s[2:3], 0
                                        ; implicit-def: $vgpr32_vgpr33
	s_and_saveexec_b64 s[6:7], vcc
	s_cbranch_execz .LBB11_11
; %bb.10:                               ;   in Loop: Header=BB11_8 Depth=1
	global_load_dwordx2 v[32:33], v[18:19], off
	s_mov_b64 s[2:3], exec
.LBB11_11:                              ;   in Loop: Header=BB11_8 Depth=1
	s_or_b64 exec, exec, s[6:7]
	s_mov_b32 s6, 0xff800000
	s_orn2_b64 s[2:3], s[2:3], exec
.LBB11_12:                              ;   in Loop: Header=BB11_8 Depth=1
	s_or_b64 exec, exec, s[0:1]
	v_mov_b32_e32 v37, s6
	s_and_saveexec_b64 s[0:1], s[2:3]
	s_cbranch_execz .LBB11_14
; %bb.13:                               ;   in Loop: Header=BB11_8 Depth=1
	s_waitcnt vmcnt(0)
	v_mul_lo_u32 v37, v33, s14
	v_mul_lo_u32 v38, v32, s15
	v_mad_u64_u32 v[32:33], s[2:3], v32, s14, 0
	v_add3_u32 v33, v33, v38, v37
	v_lshlrev_b64 v[32:33], 2, v[32:33]
	v_add_co_u32_e32 v32, vcc, v34, v32
	v_addc_co_u32_e32 v33, vcc, v35, v33, vcc
	global_load_dword v37, v[32:33], off
.LBB11_14:                              ;   in Loop: Header=BB11_8 Depth=1
	s_or_b64 exec, exec, s[0:1]
	s_waitcnt vmcnt(0)
	v_add_co_u32_e32 v32, vcc, v0, v30
	v_addc_co_u32_e32 v33, vcc, 0, v31, vcc
	v_cmp_ge_i64_e32 vcc, s[26:27], v[32:33]
	s_and_saveexec_b64 s[0:1], vcc
	s_cbranch_execz .LBB11_7
; %bb.15:                               ;   in Loop: Header=BB11_8 Depth=1
	global_store_dword v[24:25], v37, off
	s_branch .LBB11_7
.LBB11_16:
	s_load_dwordx2 s[4:5], s[4:5], 0x18
	v_cmp_lt_i64_e64 s[0:1], 0, v[14:15]
	v_cmp_ne_u64_e64 s[2:3], 0, v[14:15]
	s_mov_b32 s46, 0xff800000
	s_mov_b32 s47, 0x3fb8aa3b
	s_waitcnt lgkmcnt(0)
	s_add_u32 s12, s4, -2
	s_addc_u32 s13, s5, -1
	s_mul_hi_u32 s6, s18, s12
	s_mul_i32 s7, s18, s13
	s_add_i32 s6, s6, s7
	s_mul_i32 s7, s19, s12
	s_add_i32 s7, s6, s7
	s_mul_i32 s6, s18, s12
	s_lshl_b64 s[6:7], s[6:7], 2
	s_add_u32 s6, s28, s6
	s_addc_u32 s7, s29, s7
	v_mov_b32_e32 v15, s7
	v_add_co_u32_e32 v14, vcc, s6, v20
	s_lshl_b64 s[6:7], s[18:19], 2
	s_sub_u32 s42, 0, s6
	s_subb_u32 s43, 0, s7
	s_mul_i32 s6, s10, s13
	s_mul_hi_u32 s7, s10, s12
	s_add_i32 s6, s7, s6
	s_mul_i32 s7, s11, s12
	s_add_i32 s7, s6, s7
	s_mul_i32 s6, s10, s12
	s_lshl_b64 s[6:7], s[6:7], 2
	s_add_u32 s6, s30, s6
	v_addc_co_u32_e32 v15, vcc, v15, v21, vcc
	s_addc_u32 s7, s31, s7
	v_mov_b32_e32 v18, s7
	v_add_co_u32_e32 v16, vcc, s6, v16
	s_lshl_b64 s[14:15], s[14:15], 2
	s_lshl_b64 s[6:7], s[10:11], 2
	s_sub_u32 s44, 0, s6
	s_subb_u32 s45, 0, s7
	v_cmp_gt_i64_e64 s[16:17], s[4:5], 1
	s_add_u32 s4, s4, -1
	s_addc_u32 s5, s5, -1
	s_mul_i32 s5, s18, s5
	s_mul_hi_u32 s6, s18, s4
	s_add_i32 s5, s6, s5
	s_mul_i32 s6, s19, s4
	s_add_i32 s5, s5, s6
	s_mul_i32 s4, s18, s4
	s_lshl_b64 s[4:5], s[4:5], 2
	v_addc_co_u32_e32 v17, vcc, v18, v17, vcc
	v_lshlrev_b64 v[18:19], 2, v[22:23]
	s_add_u32 s4, s28, s4
	v_add_co_u32_e32 v24, vcc, 4, v18
	s_addc_u32 s5, s29, s5
	v_addc_co_u32_e32 v25, vcc, 0, v19, vcc
	v_pk_mov_b32 v[18:19], s[4:5], s[4:5] op_sel:[0,1]
	v_mad_u64_u32 v[18:19], s[6:7], s20, v24, v[18:19]
	v_mul_lo_u32 v25, s20, v25
	v_mul_lo_u32 v24, s21, v24
	v_add3_u32 v19, v24, v19, v25
	v_mov_b32_e32 v24, s5
	v_add_co_u32_e32 v20, vcc, s4, v20
	v_addc_co_u32_e32 v21, vcc, v24, v21, vcc
	v_add_co_u32_e32 v22, vcc, 2, v22
	v_addc_co_u32_e32 v23, vcc, 0, v23, vcc
	v_mul_lo_u32 v24, s21, v22
	v_mul_lo_u32 v25, s20, v23
	v_mad_u64_u32 v[22:23], s[6:7], s20, v22, 0
	v_add3_u32 v23, v23, v25, v24
	v_lshlrev_b64 v[22:23], 2, v[22:23]
	v_mov_b32_e32 v24, s5
	v_add_co_u32_e32 v22, vcc, s4, v22
	v_addc_co_u32_e32 v23, vcc, v24, v23, vcc
	s_mov_b32 s48, 0xc2ce8ed0
	s_mov_b32 s49, 0x42b17218
	;; [unrolled: 1-line block ×5, first 2 shown]
	v_mov_b32_e32 v37, 0x7f800000
	v_mov_b32_e32 v38, 0x4f800000
	;; [unrolled: 1-line block ×3, first 2 shown]
	s_branch .LBB11_18
.LBB11_17:                              ;   in Loop: Header=BB11_18 Depth=1
	v_subrev_co_u32_e32 v4, vcc, s33, v4
	v_subbrev_co_u32_e32 v5, vcc, 0, v5, vcc
	v_mov_b32_e32 v24, s41
	v_add_co_u32_e32 v14, vcc, s40, v14
	v_addc_co_u32_e32 v15, vcc, v15, v24, vcc
	v_add_co_u32_e32 v18, vcc, s40, v18
	v_addc_co_u32_e32 v19, vcc, v19, v24, vcc
	;; [unrolled: 2-line block ×4, first 2 shown]
	v_cmp_gt_i64_e32 vcc, 0, v[4:5]
	s_cbranch_vccnz .LBB11_43
.LBB11_18:                              ; =>This Loop Header: Depth=1
                                        ;     Child Loop BB11_29 Depth 2
	v_add_co_u32_e32 v24, vcc, v4, v0
	v_addc_co_u32_e32 v25, vcc, 0, v5, vcc
	v_cmp_le_i64_e64 s[4:5], v[24:25], v[6:7]
	s_and_b64 s[6:7], s[0:1], s[4:5]
	s_waitcnt vmcnt(0)
	v_pk_mov_b32 v[26:27], s[34:35], s[34:35] op_sel:[0,1]
	s_mov_b64 s[10:11], 0
	s_and_saveexec_b64 s[8:9], s[6:7]
	s_cbranch_execz .LBB11_26
; %bb.19:                               ;   in Loop: Header=BB11_18 Depth=1
	v_and_b32_e32 v26, 1, v24
	v_cmp_eq_u32_e32 vcc, 1, v26
	v_pk_mov_b32 v[26:27], s[34:35], s[34:35] op_sel:[0,1]
	s_and_saveexec_b64 s[10:11], vcc
	s_cbranch_execz .LBB11_21
; %bb.20:                               ;   in Loop: Header=BB11_18 Depth=1
	v_alignbit_b32 v26, v25, v24, 1
	v_lshrrev_b32_e32 v29, 1, v25
	v_mul_lo_u32 v28, v26, s25
	v_mad_u64_u32 v[26:27], s[6:7], v26, s24, 0
	v_mul_lo_u32 v29, v29, s24
	v_add3_u32 v27, v27, v28, v29
	v_lshlrev_b64 v[26:27], 3, v[26:27]
	v_add_co_u32_e64 v26, s[6:7], v1, v26
	v_addc_co_u32_e64 v27, s[6:7], v36, v27, s[6:7]
	global_load_dwordx2 v[26:27], v[26:27], off
.LBB11_21:                              ;   in Loop: Header=BB11_18 Depth=1
	s_or_b64 exec, exec, s[10:11]
	v_cmp_lt_i64_e64 s[6:7], v[24:25], v[8:9]
	s_mov_b64 s[18:19], 0
	s_and_saveexec_b64 s[10:11], s[6:7]
	s_cbranch_execz .LBB11_25
; %bb.22:                               ;   in Loop: Header=BB11_18 Depth=1
	v_pk_mov_b32 v[28:29], s[34:35], s[34:35] op_sel:[0,1]
	s_and_saveexec_b64 s[6:7], vcc
	s_cbranch_execz .LBB11_24
; %bb.23:                               ;   in Loop: Header=BB11_18 Depth=1
	v_add_co_u32_e32 v28, vcc, 2, v24
	v_addc_co_u32_e32 v30, vcc, 0, v25, vcc
	v_alignbit_b32 v28, v30, v28, 1
	v_lshrrev_b32_e32 v30, 1, v30
	v_mul_lo_u32 v31, v28, s25
	v_mad_u64_u32 v[28:29], s[18:19], v28, s24, 0
	v_mul_lo_u32 v30, v30, s24
	v_add3_u32 v29, v29, v31, v30
	v_lshlrev_b64 v[28:29], 3, v[28:29]
	v_add_co_u32_e32 v28, vcc, v1, v28
	v_addc_co_u32_e32 v29, vcc, v36, v29, vcc
	global_load_dwordx2 v[28:29], v[28:29], off
.LBB11_24:                              ;   in Loop: Header=BB11_18 Depth=1
	s_or_b64 exec, exec, s[6:7]
	s_waitcnt vmcnt(0)
	v_cmp_ne_u64_e32 vcc, v[28:29], v[26:27]
	s_and_b64 s[18:19], vcc, exec
.LBB11_25:                              ;   in Loop: Header=BB11_18 Depth=1
	s_or_b64 exec, exec, s[10:11]
	s_and_b64 s[10:11], s[18:19], exec
.LBB11_26:                              ;   in Loop: Header=BB11_18 Depth=1
	s_or_b64 exec, exec, s[8:9]
	s_andn2_b64 vcc, exec, s[16:17]
	s_cbranch_vccnz .LBB11_17
; %bb.27:                               ;   in Loop: Header=BB11_18 Depth=1
	v_cmp_gt_i64_e64 s[6:7], 1, v[24:25]
	v_cmp_lt_i64_e32 vcc, s[26:27], v[24:25]
	s_or_b64 s[18:19], s[2:3], s[6:7]
	v_cmp_lt_i64_e64 s[6:7], v[24:25], v[6:7]
	s_waitcnt vmcnt(0)
	v_mad_u64_u32 v[24:25], s[8:9], s14, v26, v[16:17]
	v_mul_lo_u32 v27, s14, v27
	v_mul_lo_u32 v26, s15, v26
	v_add3_u32 v25, v26, v25, v27
	s_xor_b64 s[20:21], s[4:5], -1
	v_pk_mov_b32 v[26:27], v[22:23], v[22:23] op_sel:[0,1]
	v_pk_mov_b32 v[28:29], v[20:21], v[20:21] op_sel:[0,1]
	;; [unrolled: 1-line block ×4, first 2 shown]
	s_mov_b64 s[22:23], s[12:13]
	s_branch .LBB11_29
.LBB11_28:                              ;   in Loop: Header=BB11_29 Depth=2
	s_or_b64 exec, exec, s[30:31]
	v_mov_b32_e32 v34, s43
	v_add_co_u32_e64 v32, s[8:9], s42, v32
	v_addc_co_u32_e64 v33, s[8:9], v33, v34, s[8:9]
	v_mov_b32_e32 v34, s45
	v_add_co_u32_e64 v24, s[8:9], s44, v24
	v_addc_co_u32_e64 v25, s[8:9], v25, v34, s[8:9]
	;; [unrolled: 3-line block ×3, first 2 shown]
	v_add_co_u32_e64 v28, s[8:9], s42, v28
	s_add_u32 s22, s22, -1
	v_addc_co_u32_e64 v29, s[8:9], v29, v34, s[8:9]
	s_addc_u32 s23, s23, -1
	v_add_co_u32_e64 v26, s[8:9], s42, v26
	s_cmp_eq_u64 s[22:23], -1
	v_addc_co_u32_e64 v27, s[8:9], v27, v34, s[8:9]
	s_cbranch_scc1 .LBB11_17
.LBB11_29:                              ;   Parent Loop BB11_18 Depth=1
                                        ; =>  This Inner Loop Header: Depth=2
	v_cmp_ge_i64_e64 s[8:9], s[22:23], v[10:11]
	s_or_b64 s[30:31], s[20:21], s[8:9]
	s_mov_b64 s[28:29], 0
	s_barrier
	s_waitcnt lgkmcnt(0)
                                        ; implicit-def: $sgpr8
	s_and_saveexec_b64 s[36:37], s[30:31]
	s_xor_b64 s[30:31], exec, s[36:37]
	s_cbranch_execnz .LBB11_32
; %bb.30:                               ;   in Loop: Header=BB11_29 Depth=2
	s_or_saveexec_b64 s[30:31], s[30:31]
	v_mov_b32_e32 v34, s8
	s_xor_b64 exec, exec, s[30:31]
	s_cbranch_execnz .LBB11_33
.LBB11_31:                              ;   in Loop: Header=BB11_29 Depth=2
	s_or_b64 exec, exec, s[30:31]
	s_and_saveexec_b64 s[30:31], s[28:29]
	s_cbranch_execz .LBB11_28
	s_branch .LBB11_42
.LBB11_32:                              ;   in Loop: Header=BB11_29 Depth=2
	v_cmp_lt_i64_e64 s[8:9], s[22:23], v[2:3]
	s_and_b64 s[8:9], s[18:19], s[8:9]
	s_and_b64 s[8:9], s[8:9], s[4:5]
	s_or_b64 s[8:9], vcc, s[8:9]
	s_xor_b64 s[28:29], s[8:9], -1
	s_mov_b32 s8, 0xff800000
	s_and_b64 s[28:29], s[28:29], exec
	s_or_saveexec_b64 s[30:31], s[30:31]
	v_mov_b32_e32 v34, s8
	s_xor_b64 exec, exec, s[30:31]
	s_cbranch_execz .LBB11_31
.LBB11_33:                              ;   in Loop: Header=BB11_29 Depth=2
	v_add_co_u32_e64 v34, s[8:9], v28, v12
	v_addc_co_u32_e64 v35, s[8:9], v29, v13, s[8:9]
	global_load_dword v34, v[34:35], off
	v_mov_b32_e32 v40, 0xff800000
	v_mov_b32_e32 v35, 0xff800000
	s_waitcnt vmcnt(0)
	v_mov_b32_e32 v41, v34
	s_and_saveexec_b64 s[36:37], s[6:7]
	s_cbranch_execz .LBB11_37
; %bb.34:                               ;   in Loop: Header=BB11_29 Depth=2
	v_add_co_u32_e64 v42, s[8:9], v30, v12
	v_addc_co_u32_e64 v43, s[8:9], v31, v13, s[8:9]
	global_load_dword v35, v[42:43], off
	v_mov_b32_e32 v41, v34
	s_waitcnt vmcnt(0)
	v_cmp_gt_f32_e64 s[8:9], v35, v34
	s_and_saveexec_b64 s[38:39], s[8:9]
; %bb.35:                               ;   in Loop: Header=BB11_29 Depth=2
	v_mov_b32_e32 v41, v35
; %bb.36:                               ;   in Loop: Header=BB11_29 Depth=2
	s_or_b64 exec, exec, s[38:39]
.LBB11_37:                              ;   in Loop: Header=BB11_29 Depth=2
	s_or_b64 exec, exec, s[36:37]
	s_and_saveexec_b64 s[36:37], s[10:11]
	s_cbranch_execz .LBB11_41
; %bb.38:                               ;   in Loop: Header=BB11_29 Depth=2
	v_add_co_u32_e64 v42, s[8:9], v26, v12
	v_addc_co_u32_e64 v43, s[8:9], v27, v13, s[8:9]
	global_load_dword v40, v[42:43], off
	s_waitcnt vmcnt(0)
	v_cmp_gt_f32_e64 s[8:9], v40, v41
	s_and_saveexec_b64 s[38:39], s[8:9]
; %bb.39:                               ;   in Loop: Header=BB11_29 Depth=2
	v_mov_b32_e32 v41, v40
; %bb.40:                               ;   in Loop: Header=BB11_29 Depth=2
	s_or_b64 exec, exec, s[38:39]
.LBB11_41:                              ;   in Loop: Header=BB11_29 Depth=2
	s_or_b64 exec, exec, s[36:37]
	global_load_dword v43, v[24:25], off
	v_cmp_neq_f32_e64 s[8:9], s46, v41
	v_cndmask_b32_e64 v42, 0, v41, s[8:9]
	v_sub_f32_e32 v40, v40, v42
	v_mul_f32_e32 v45, 0x3fb8aa3b, v40
	v_fma_f32 v50, v40, s47, -v45
	v_rndne_f32_e32 v51, v45
	v_fmac_f32_e32 v50, 0x32a5705f, v40
	v_sub_f32_e32 v45, v45, v51
	v_add_f32_e32 v45, v45, v50
	v_cvt_i32_f32_e32 v51, v51
	v_exp_f32_e32 v45, v45
	s_or_b64 s[28:29], s[28:29], exec
	v_ldexp_f32 v45, v45, v51
	s_waitcnt vmcnt(0)
	v_pk_add_f32 v[34:35], v[34:35], v[42:43] op_sel_hi:[1,0] neg_lo:[0,1] neg_hi:[0,1]
	v_mul_f32_e32 v41, 0x3fb8aa3b, v35
	v_mul_f32_e32 v44, 0x3fb8aa3b, v34
	v_fma_f32 v46, v35, s47, -v41
	v_rndne_f32_e32 v47, v41
	v_fma_f32 v48, v34, s47, -v44
	v_rndne_f32_e32 v49, v44
	v_fmac_f32_e32 v46, 0x32a5705f, v35
	v_sub_f32_e32 v41, v41, v47
	v_fmac_f32_e32 v48, 0x32a5705f, v34
	v_sub_f32_e32 v44, v44, v49
	v_add_f32_e32 v41, v41, v46
	v_cvt_i32_f32_e32 v47, v47
	v_add_f32_e32 v44, v44, v48
	v_exp_f32_e32 v41, v41
	v_cvt_i32_f32_e32 v49, v49
	v_exp_f32_e32 v44, v44
	v_cmp_ngt_f32_e64 s[8:9], s48, v35
	v_ldexp_f32 v41, v41, v47
	v_cndmask_b32_e64 v41, 0, v41, s[8:9]
	v_ldexp_f32 v44, v44, v49
	v_cmp_ngt_f32_e64 s[8:9], s48, v34
	v_cndmask_b32_e64 v44, 0, v44, s[8:9]
	v_cmp_ngt_f32_e64 s[8:9], s48, v40
	v_cndmask_b32_e64 v45, 0, v45, s[8:9]
	v_cmp_nlt_f32_e64 s[8:9], s49, v35
	v_cndmask_b32_e64 v35, v37, v41, s[8:9]
	v_cmp_nlt_f32_e64 s[8:9], s49, v34
	;; [unrolled: 2-line block ×3, first 2 shown]
	v_cndmask_b32_e64 v40, v37, v45, s[8:9]
	v_add_f32_e32 v34, v34, v35
	v_add_f32_e32 v34, v40, v34
	v_cmp_gt_f32_e64 s[8:9], s51, v34
	v_cndmask_b32_e64 v35, 1.0, v38, s[8:9]
	v_mul_f32_e32 v34, v34, v35
	v_log_f32_e32 v34, v34
	v_cndmask_b32_e64 v35, 0, v39, s[8:9]
	v_mul_f32_e32 v40, 0x3f317217, v34
	v_fma_f32 v41, v34, s52, -v40
	v_fmac_f32_e32 v41, 0x3377d1cf, v34
	v_add_f32_e32 v40, v40, v41
	v_cmp_lt_f32_e64 s[8:9], |v34|, s50
	v_cndmask_b32_e64 v34, v34, v40, s[8:9]
	v_sub_f32_e32 v34, v34, v35
	v_add_f32_e32 v34, v42, v34
	v_add_f32_e32 v34, v43, v34
	s_or_b64 exec, exec, s[30:31]
	s_and_saveexec_b64 s[30:31], s[28:29]
	s_cbranch_execz .LBB11_28
.LBB11_42:                              ;   in Loop: Header=BB11_29 Depth=2
	v_add_co_u32_e64 v40, s[8:9], v32, v12
	v_addc_co_u32_e64 v41, s[8:9], v33, v13, s[8:9]
	global_store_dword v[40:41], v34, off
	s_branch .LBB11_28
.LBB11_43:
	s_endpgm
.LBB11_44:
                                        ; implicit-def: $vgpr20_vgpr21
	s_branch .LBB11_4
	.section	.rodata,"a",@progbits
	.p2align	6, 0x0
	.amdhsa_kernel _ZN2at6native12_GLOBAL__N_137ctc_loss_backward_log_beta_gpu_kernelIflEEvPT_PKS3_PKllPKT0_S8_lllllllS8_lll
		.amdhsa_group_segment_fixed_size 0
		.amdhsa_private_segment_fixed_size 0
		.amdhsa_kernarg_size 392
		.amdhsa_user_sgpr_count 6
		.amdhsa_user_sgpr_private_segment_buffer 1
		.amdhsa_user_sgpr_dispatch_ptr 0
		.amdhsa_user_sgpr_queue_ptr 0
		.amdhsa_user_sgpr_kernarg_segment_ptr 1
		.amdhsa_user_sgpr_dispatch_id 0
		.amdhsa_user_sgpr_flat_scratch_init 0
		.amdhsa_user_sgpr_kernarg_preload_length 0
		.amdhsa_user_sgpr_kernarg_preload_offset 0
		.amdhsa_user_sgpr_private_segment_size 0
		.amdhsa_uses_dynamic_stack 0
		.amdhsa_system_sgpr_private_segment_wavefront_offset 0
		.amdhsa_system_sgpr_workgroup_id_x 1
		.amdhsa_system_sgpr_workgroup_id_y 1
		.amdhsa_system_sgpr_workgroup_id_z 0
		.amdhsa_system_sgpr_workgroup_info 0
		.amdhsa_system_vgpr_workitem_id 1
		.amdhsa_next_free_vgpr 52
		.amdhsa_next_free_sgpr 53
		.amdhsa_accum_offset 52
		.amdhsa_reserve_vcc 1
		.amdhsa_reserve_flat_scratch 0
		.amdhsa_float_round_mode_32 0
		.amdhsa_float_round_mode_16_64 0
		.amdhsa_float_denorm_mode_32 3
		.amdhsa_float_denorm_mode_16_64 3
		.amdhsa_dx10_clamp 1
		.amdhsa_ieee_mode 1
		.amdhsa_fp16_overflow 0
		.amdhsa_tg_split 0
		.amdhsa_exception_fp_ieee_invalid_op 0
		.amdhsa_exception_fp_denorm_src 0
		.amdhsa_exception_fp_ieee_div_zero 0
		.amdhsa_exception_fp_ieee_overflow 0
		.amdhsa_exception_fp_ieee_underflow 0
		.amdhsa_exception_fp_ieee_inexact 0
		.amdhsa_exception_int_div_zero 0
	.end_amdhsa_kernel
	.section	.text._ZN2at6native12_GLOBAL__N_137ctc_loss_backward_log_beta_gpu_kernelIflEEvPT_PKS3_PKllPKT0_S8_lllllllS8_lll,"axG",@progbits,_ZN2at6native12_GLOBAL__N_137ctc_loss_backward_log_beta_gpu_kernelIflEEvPT_PKS3_PKllPKT0_S8_lllllllS8_lll,comdat
.Lfunc_end11:
	.size	_ZN2at6native12_GLOBAL__N_137ctc_loss_backward_log_beta_gpu_kernelIflEEvPT_PKS3_PKllPKT0_S8_lllllllS8_lll, .Lfunc_end11-_ZN2at6native12_GLOBAL__N_137ctc_loss_backward_log_beta_gpu_kernelIflEEvPT_PKS3_PKllPKT0_S8_lllllllS8_lll
                                        ; -- End function
	.section	.AMDGPU.csdata,"",@progbits
; Kernel info:
; codeLenInByte = 3252
; NumSgprs: 57
; NumVgprs: 52
; NumAgprs: 0
; TotalNumVgprs: 52
; ScratchSize: 0
; MemoryBound: 0
; FloatMode: 240
; IeeeMode: 1
; LDSByteSize: 0 bytes/workgroup (compile time only)
; SGPRBlocks: 7
; VGPRBlocks: 6
; NumSGPRsForWavesPerEU: 57
; NumVGPRsForWavesPerEU: 52
; AccumOffset: 52
; Occupancy: 8
; WaveLimiterHint : 1
; COMPUTE_PGM_RSRC2:SCRATCH_EN: 0
; COMPUTE_PGM_RSRC2:USER_SGPR: 6
; COMPUTE_PGM_RSRC2:TRAP_HANDLER: 0
; COMPUTE_PGM_RSRC2:TGID_X_EN: 1
; COMPUTE_PGM_RSRC2:TGID_Y_EN: 1
; COMPUTE_PGM_RSRC2:TGID_Z_EN: 0
; COMPUTE_PGM_RSRC2:TIDIG_COMP_CNT: 1
; COMPUTE_PGM_RSRC3_GFX90A:ACCUM_OFFSET: 12
; COMPUTE_PGM_RSRC3_GFX90A:TG_SPLIT: 0
	.section	.text._ZN2at6native12_GLOBAL__N_145ctc_loss_backward_collect_nonblank_gpu_kernelIflEEvPT_PKS3_lS6_S6_S6_PKlPKT0_S8_S6_llllllllllllS8_llb,"axG",@progbits,_ZN2at6native12_GLOBAL__N_145ctc_loss_backward_collect_nonblank_gpu_kernelIflEEvPT_PKS3_lS6_S6_S6_PKlPKT0_S8_S6_llllllllllllS8_llb,comdat
	.globl	_ZN2at6native12_GLOBAL__N_145ctc_loss_backward_collect_nonblank_gpu_kernelIflEEvPT_PKS3_lS6_S6_S6_PKlPKT0_S8_S6_llllllllllllS8_llb ; -- Begin function _ZN2at6native12_GLOBAL__N_145ctc_loss_backward_collect_nonblank_gpu_kernelIflEEvPT_PKS3_lS6_S6_S6_PKlPKT0_S8_S6_llllllllllllS8_llb
	.p2align	8
	.type	_ZN2at6native12_GLOBAL__N_145ctc_loss_backward_collect_nonblank_gpu_kernelIflEEvPT_PKS3_lS6_S6_S6_PKlPKT0_S8_S6_llllllllllllS8_llb,@function
_ZN2at6native12_GLOBAL__N_145ctc_loss_backward_collect_nonblank_gpu_kernelIflEEvPT_PKS3_lS6_S6_S6_PKlPKT0_S8_S6_llllllllllllS8_llb: ; @_ZN2at6native12_GLOBAL__N_145ctc_loss_backward_collect_nonblank_gpu_kernelIflEEvPT_PKS3_lS6_S6_S6_PKlPKT0_S8_S6_llllllllllllS8_llb
; %bb.0:
	s_load_dword s8, s[4:5], 0xdc
	s_load_dwordx4 s[0:3], s[4:5], 0xb8
	v_bfe_u32 v1, v0, 10, 10
	v_mov_b32_e32 v3, 0
	s_waitcnt lgkmcnt(0)
	s_lshr_b32 s9, s8, 16
	s_mul_i32 s7, s7, s9
	v_add_u32_e32 v2, s7, v1
	v_cmp_gt_i64_e32 vcc, s[2:3], v[2:3]
	s_and_saveexec_b64 s[2:3], vcc
	s_cbranch_execz .LBB12_5
; %bb.1:
	s_load_dwordx2 s[2:3], s[4:5], 0x40
	v_lshlrev_b64 v[6:7], 3, v[2:3]
	v_and_b32_e32 v0, 0x3ff, v0
	s_waitcnt lgkmcnt(0)
	v_mov_b32_e32 v1, s3
	v_add_co_u32_e32 v4, vcc, s2, v6
	v_addc_co_u32_e32 v5, vcc, v1, v7, vcc
	global_load_dwordx2 v[8:9], v[4:5], off
	v_mov_b32_e32 v1, v3
	s_and_b32 s2, s8, 0xffff
	v_mov_b32_e32 v4, s6
	v_mad_u64_u32 v[4:5], s[2:3], s2, v4, v[0:1]
	s_waitcnt vmcnt(0)
	v_cmp_lt_i64_e32 vcc, v[4:5], v[8:9]
	s_and_b64 exec, exec, vcc
	s_cbranch_execz .LBB12_5
; %bb.2:
	s_load_dword s8, s[4:5], 0xc8
	s_load_dwordx2 s[2:3], s[4:5], 0x30
	s_load_dwordx2 s[6:7], s[4:5], 0x48
	v_lshlrev_b64 v[0:1], 2, v[2:3]
	s_mov_b32 s9, 0x7f800000
	s_waitcnt lgkmcnt(0)
	s_bitcmp1_b32 s8, 0
	v_mov_b32_e32 v3, s3
	v_mov_b32_e32 v8, s7
	v_add_co_u32_e32 v0, vcc, s6, v0
	v_addc_co_u32_e32 v1, vcc, v8, v1, vcc
	global_load_dword v10, v[0:1], off
	v_add_co_u32_e32 v0, vcc, s2, v6
	v_addc_co_u32_e32 v1, vcc, v3, v7, vcc
	global_load_dwordx2 v[0:1], v[0:1], off
	s_cselect_b64 s[2:3], -1, 0
	s_xor_b64 s[2:3], s[2:3], -1
	s_mov_b64 s[6:7], 0
	s_waitcnt vmcnt(1)
	v_cmp_neq_f32_e32 vcc, s9, v10
	s_or_b64 s[2:3], s[2:3], vcc
	s_waitcnt vmcnt(0)
	v_cmp_lt_i64_e32 vcc, 0, v[0:1]
	s_and_b64 s[2:3], s[2:3], vcc
	s_and_b64 exec, exec, s[2:3]
	s_cbranch_execz .LBB12_5
; %bb.3:
	s_load_dwordx2 s[2:3], s[4:5], 0xb0
	v_mul_lo_u32 v11, v4, s1
	s_mov_b32 s33, 0x3fb8aa3b
	s_mov_b32 s34, 0xc2ce8ed0
	;; [unrolled: 1-line block ×3, first 2 shown]
	s_waitcnt lgkmcnt(0)
	v_mov_b32_e32 v3, s3
	v_add_co_u32_e32 v6, vcc, s2, v6
	v_addc_co_u32_e32 v7, vcc, v3, v7, vcc
	global_load_dwordx2 v[6:7], v[6:7], off
	s_load_dwordx8 s[24:31], s[4:5], 0x0
	s_load_dwordx4 s[44:47], s[4:5], 0x20
	s_load_dwordx2 s[2:3], s[4:5], 0x38
	s_load_dwordx16 s[8:23], s[4:5], 0x50
	s_load_dwordx8 s[36:43], s[4:5], 0x90
	v_mul_lo_u32 v3, v5, s0
	v_mad_u64_u32 v[8:9], s[0:1], v4, s0, 0
	v_lshlrev_b64 v[4:5], 1, v[4:5]
	v_add3_u32 v9, v9, v11, v3
	v_or_b32_e32 v3, 1, v4
	s_waitcnt lgkmcnt(0)
	v_mov_b32_e32 v4, s3
	v_lshlrev_b64 v[8:9], 3, v[8:9]
	v_mad_u64_u32 v[12:13], s[0:1], v2, s28, 0
	v_mov_b32_e32 v11, s27
	v_mad_u64_u32 v[14:15], s[0:1], v2, s10, 0
	v_mad_u64_u32 v[16:17], s[0:1], v2, s20, 0
	;; [unrolled: 1-line block ×3, first 2 shown]
	v_mul_lo_u32 v25, v5, s36
	v_mov_b32_e32 v27, s47
	v_mul_lo_u32 v29, v3, s37
	v_mad_u64_u32 v[20:21], s[0:1], v3, s36, 0
	v_mov_b32_e32 v24, v17
	v_mov_b32_e32 v26, v19
	v_add3_u32 v21, v21, v29, v25
	v_mad_u64_u32 v[24:25], s[0:1], v2, s21, v[24:25]
	v_mov_b32_e32 v17, v24
	v_mov_b32_e32 v28, s25
	;; [unrolled: 1-line block ×4, first 2 shown]
	v_lshlrev_b64 v[20:21], 2, v[20:21]
	s_lshl_b64 s[4:5], s[40:41], 2
	s_lshl_b64 s[22:23], s[22:23], 2
	;; [unrolled: 1-line block ×4, first 2 shown]
	s_waitcnt vmcnt(0)
	v_lshlrev_b64 v[6:7], 3, v[6:7]
	v_add_co_u32_e32 v6, vcc, s2, v6
	v_addc_co_u32_e32 v4, vcc, v4, v7, vcc
	v_add_co_u32_e32 v6, vcc, v6, v8
	v_addc_co_u32_e32 v7, vcc, v4, v9, vcc
	global_load_dwordx2 v[6:7], v[6:7], off
	v_mov_b32_e32 v4, v13
	v_mad_u64_u32 v[22:23], s[0:1], v2, s29, v[4:5]
	v_mov_b32_e32 v13, v22
	v_lshlrev_b64 v[12:13], 2, v[12:13]
	v_add_co_u32_e32 v12, vcc, s26, v12
	v_addc_co_u32_e32 v13, vcc, v11, v13, vcc
	global_load_dword v11, v[12:13], off
	v_mad_u64_u32 v[8:9], s[0:1], v2, s16, 0
	v_mul_lo_u32 v13, v5, s42
	v_mul_lo_u32 v23, v3, s43
	v_mad_u64_u32 v[4:5], s[0:1], v3, s42, 0
	v_mov_b32_e32 v22, v9
	v_mov_b32_e32 v12, v15
	v_add3_u32 v5, v5, v23, v13
	v_mad_u64_u32 v[22:23], s[0:1], v2, s17, v[22:23]
	v_mad_u64_u32 v[12:13], s[0:1], v2, s11, v[12:13]
	;; [unrolled: 1-line block ×3, first 2 shown]
	v_mov_b32_e32 v9, v22
	v_mov_b32_e32 v19, v2
	v_lshlrev_b64 v[2:3], 2, v[8:9]
	v_mov_b32_e32 v15, v12
	v_lshlrev_b64 v[12:13], 2, v[16:17]
	v_add_co_u32_e32 v16, vcc, s46, v2
	v_lshlrev_b64 v[8:9], 2, v[14:15]
	v_addc_co_u32_e32 v17, vcc, v27, v3, vcc
	v_lshlrev_b64 v[14:15], 2, v[18:19]
	v_add_co_u32_e32 v18, vcc, s24, v8
	v_addc_co_u32_e32 v19, vcc, v28, v9, vcc
	v_add_co_u32_e32 v2, vcc, s30, v12
	v_addc_co_u32_e32 v3, vcc, v30, v13, vcc
	;; [unrolled: 2-line block ×3, first 2 shown]
	v_add_co_u32_e32 v2, vcc, v2, v20
	v_lshlrev_b64 v[4:5], 2, v[4:5]
	v_addc_co_u32_e32 v3, vcc, v3, v21, vcc
	v_add_co_u32_e32 v4, vcc, v8, v4
	v_addc_co_u32_e32 v5, vcc, v9, v5, vcc
	s_waitcnt vmcnt(1)
	v_mul_lo_u32 v12, v7, s18
	v_mul_lo_u32 v13, v6, s19
	v_mad_u64_u32 v[8:9], s[0:1], v6, s18, 0
	v_mul_lo_u32 v14, v7, s12
	v_mul_lo_u32 v15, v6, s13
	v_mad_u64_u32 v[6:7], s[0:1], v6, s12, 0
	v_add3_u32 v9, v9, v13, v12
	v_add3_u32 v7, v7, v15, v14
	v_lshlrev_b64 v[8:9], 2, v[8:9]
	v_lshlrev_b64 v[12:13], 2, v[6:7]
	v_add_co_u32_e32 v6, vcc, v16, v8
	v_addc_co_u32_e32 v7, vcc, v17, v9, vcc
	v_add_co_u32_e32 v8, vcc, v18, v12
	v_addc_co_u32_e32 v9, vcc, v19, v13, vcc
	v_mov_b32_e32 v12, 0x7f800000
.LBB12_4:                               ; =>This Inner Loop Header: Depth=1
	global_load_dword v13, v[2:3], off
	global_load_dword v14, v[4:5], off
	;; [unrolled: 1-line block ×3, first 2 shown]
	v_add_co_u32_e64 v6, s[0:1], s14, v6
	v_add_co_u32_e64 v4, s[2:3], s4, v4
	s_waitcnt vmcnt(1)
	v_add_f32_e32 v13, v13, v14
	v_add_f32_e32 v13, v10, v13
	s_waitcnt vmcnt(0)
	v_sub_f32_e32 v13, v13, v15
	v_mul_f32_e32 v14, 0x3fb8aa3b, v13
	v_fma_f32 v15, v13, s33, -v14
	v_rndne_f32_e32 v16, v14
	v_fmac_f32_e32 v15, 0x32a5705f, v13
	v_sub_f32_e32 v14, v14, v16
	v_add_f32_e32 v14, v14, v15
	v_cvt_i32_f32_e32 v16, v16
	v_exp_f32_e32 v14, v14
	v_cmp_ngt_f32_e32 vcc, s34, v13
	v_mov_b32_e32 v15, s9
	v_ldexp_f32 v14, v14, v16
	v_cndmask_b32_e32 v14, 0, v14, vcc
	v_cmp_nlt_f32_e32 vcc, s35, v13
	v_cndmask_b32_e32 v13, v12, v14, vcc
	v_mul_f32_e64 v13, v11, -v13
	global_atomic_add_f32 v[8:9], v13, off
	v_add_co_u32_e32 v0, vcc, -1, v0
	v_addc_co_u32_e32 v1, vcc, -1, v1, vcc
	v_mov_b32_e32 v14, s23
	v_add_co_u32_e32 v2, vcc, s22, v2
	v_mov_b32_e32 v16, s15
	v_addc_co_u32_e32 v3, vcc, v3, v14, vcc
	v_addc_co_u32_e64 v7, vcc, v7, v16, s[0:1]
	v_cmp_eq_u64_e32 vcc, 0, v[0:1]
	v_mov_b32_e32 v13, s5
	s_or_b64 s[6:7], vcc, s[6:7]
	v_add_co_u32_e32 v8, vcc, s8, v8
	v_addc_co_u32_e64 v5, s[2:3], v5, v13, s[2:3]
	v_addc_co_u32_e32 v9, vcc, v9, v15, vcc
	s_andn2_b64 exec, exec, s[6:7]
	s_cbranch_execnz .LBB12_4
.LBB12_5:
	s_endpgm
	.section	.rodata,"a",@progbits
	.p2align	6, 0x0
	.amdhsa_kernel _ZN2at6native12_GLOBAL__N_145ctc_loss_backward_collect_nonblank_gpu_kernelIflEEvPT_PKS3_lS6_S6_S6_PKlPKT0_S8_S6_llllllllllllS8_llb
		.amdhsa_group_segment_fixed_size 0
		.amdhsa_private_segment_fixed_size 0
		.amdhsa_kernarg_size 464
		.amdhsa_user_sgpr_count 6
		.amdhsa_user_sgpr_private_segment_buffer 1
		.amdhsa_user_sgpr_dispatch_ptr 0
		.amdhsa_user_sgpr_queue_ptr 0
		.amdhsa_user_sgpr_kernarg_segment_ptr 1
		.amdhsa_user_sgpr_dispatch_id 0
		.amdhsa_user_sgpr_flat_scratch_init 0
		.amdhsa_user_sgpr_kernarg_preload_length 0
		.amdhsa_user_sgpr_kernarg_preload_offset 0
		.amdhsa_user_sgpr_private_segment_size 0
		.amdhsa_uses_dynamic_stack 0
		.amdhsa_system_sgpr_private_segment_wavefront_offset 0
		.amdhsa_system_sgpr_workgroup_id_x 1
		.amdhsa_system_sgpr_workgroup_id_y 1
		.amdhsa_system_sgpr_workgroup_id_z 0
		.amdhsa_system_sgpr_workgroup_info 0
		.amdhsa_system_vgpr_workitem_id 1
		.amdhsa_next_free_vgpr 32
		.amdhsa_next_free_sgpr 48
		.amdhsa_accum_offset 32
		.amdhsa_reserve_vcc 1
		.amdhsa_reserve_flat_scratch 0
		.amdhsa_float_round_mode_32 0
		.amdhsa_float_round_mode_16_64 0
		.amdhsa_float_denorm_mode_32 3
		.amdhsa_float_denorm_mode_16_64 3
		.amdhsa_dx10_clamp 1
		.amdhsa_ieee_mode 1
		.amdhsa_fp16_overflow 0
		.amdhsa_tg_split 0
		.amdhsa_exception_fp_ieee_invalid_op 0
		.amdhsa_exception_fp_denorm_src 0
		.amdhsa_exception_fp_ieee_div_zero 0
		.amdhsa_exception_fp_ieee_overflow 0
		.amdhsa_exception_fp_ieee_underflow 0
		.amdhsa_exception_fp_ieee_inexact 0
		.amdhsa_exception_int_div_zero 0
	.end_amdhsa_kernel
	.section	.text._ZN2at6native12_GLOBAL__N_145ctc_loss_backward_collect_nonblank_gpu_kernelIflEEvPT_PKS3_lS6_S6_S6_PKlPKT0_S8_S6_llllllllllllS8_llb,"axG",@progbits,_ZN2at6native12_GLOBAL__N_145ctc_loss_backward_collect_nonblank_gpu_kernelIflEEvPT_PKS3_lS6_S6_S6_PKlPKT0_S8_S6_llllllllllllS8_llb,comdat
.Lfunc_end12:
	.size	_ZN2at6native12_GLOBAL__N_145ctc_loss_backward_collect_nonblank_gpu_kernelIflEEvPT_PKS3_lS6_S6_S6_PKlPKT0_S8_S6_llllllllllllS8_llb, .Lfunc_end12-_ZN2at6native12_GLOBAL__N_145ctc_loss_backward_collect_nonblank_gpu_kernelIflEEvPT_PKS3_lS6_S6_S6_PKlPKT0_S8_S6_llllllllllllS8_llb
                                        ; -- End function
	.section	.AMDGPU.csdata,"",@progbits
; Kernel info:
; codeLenInByte = 1136
; NumSgprs: 52
; NumVgprs: 32
; NumAgprs: 0
; TotalNumVgprs: 32
; ScratchSize: 0
; MemoryBound: 0
; FloatMode: 240
; IeeeMode: 1
; LDSByteSize: 0 bytes/workgroup (compile time only)
; SGPRBlocks: 6
; VGPRBlocks: 3
; NumSGPRsForWavesPerEU: 52
; NumVGPRsForWavesPerEU: 32
; AccumOffset: 32
; Occupancy: 8
; WaveLimiterHint : 1
; COMPUTE_PGM_RSRC2:SCRATCH_EN: 0
; COMPUTE_PGM_RSRC2:USER_SGPR: 6
; COMPUTE_PGM_RSRC2:TRAP_HANDLER: 0
; COMPUTE_PGM_RSRC2:TGID_X_EN: 1
; COMPUTE_PGM_RSRC2:TGID_Y_EN: 1
; COMPUTE_PGM_RSRC2:TGID_Z_EN: 0
; COMPUTE_PGM_RSRC2:TIDIG_COMP_CNT: 1
; COMPUTE_PGM_RSRC3_GFX90A:ACCUM_OFFSET: 7
; COMPUTE_PGM_RSRC3_GFX90A:TG_SPLIT: 0
	.section	.text._ZN2at6native12_GLOBAL__N_136ctc_loss_backward_collect_gpu_kernelIflEEvPT_PKS3_lS6_S6_S6_PKllPKT0_S8_lS6_llllllllllllS8_llllb,"axG",@progbits,_ZN2at6native12_GLOBAL__N_136ctc_loss_backward_collect_gpu_kernelIflEEvPT_PKS3_lS6_S6_S6_PKllPKT0_S8_lS6_llllllllllllS8_llllb,comdat
	.globl	_ZN2at6native12_GLOBAL__N_136ctc_loss_backward_collect_gpu_kernelIflEEvPT_PKS3_lS6_S6_S6_PKllPKT0_S8_lS6_llllllllllllS8_llllb ; -- Begin function _ZN2at6native12_GLOBAL__N_136ctc_loss_backward_collect_gpu_kernelIflEEvPT_PKS3_lS6_S6_S6_PKllPKT0_S8_lS6_llllllllllllS8_llllb
	.p2align	8
	.type	_ZN2at6native12_GLOBAL__N_136ctc_loss_backward_collect_gpu_kernelIflEEvPT_PKS3_lS6_S6_S6_PKllPKT0_S8_lS6_llllllllllllS8_llllb,@function
_ZN2at6native12_GLOBAL__N_136ctc_loss_backward_collect_gpu_kernelIflEEvPT_PKS3_lS6_S6_S6_PKllPKT0_S8_lS6_llllllllllllS8_llllb: ; @_ZN2at6native12_GLOBAL__N_136ctc_loss_backward_collect_gpu_kernelIflEEvPT_PKS3_lS6_S6_S6_PKllPKT0_S8_lS6_llllllllllllS8_llllb
; %bb.0:
	s_load_dword s2, s[4:5], 0xfc
	s_load_dwordx2 s[0:1], s[4:5], 0x38
	s_load_dwordx8 s[24:31], s[4:5], 0xc8
	v_bfe_u32 v1, v0, 10, 10
	v_mov_b32_e32 v3, 0
	s_waitcnt lgkmcnt(0)
	s_lshr_b32 s3, s2, 16
	s_mul_i32 s7, s7, s3
	v_add_u32_e32 v2, s7, v1
	v_and_b32_e32 v0, 0x3ff, v0
	v_mov_b32_e32 v1, v3
	s_and_b32 s2, s2, 0xffff
	v_mov_b32_e32 v4, s6
	v_mad_u64_u32 v[0:1], s[2:3], s2, v4, v[0:1]
	v_cmp_gt_i64_e32 vcc, s[0:1], v[0:1]
	v_cmp_gt_i64_e64 s[0:1], s[26:27], v[2:3]
	s_and_b64 s[0:1], vcc, s[0:1]
	s_and_saveexec_b64 s[2:3], s[0:1]
	s_cbranch_execz .LBB13_15
; %bb.1:
	s_load_dwordx2 s[0:1], s[4:5], 0x30
	s_load_dwordx2 s[26:27], s[4:5], 0x50
	v_lshlrev_b64 v[8:9], 3, v[2:3]
	s_waitcnt lgkmcnt(0)
	v_mov_b32_e32 v5, s1
	v_add_co_u32_e32 v4, vcc, s0, v8
	v_addc_co_u32_e32 v5, vcc, v5, v9, vcc
	global_load_dwordx2 v[6:7], v[4:5], off
	s_load_dwordx16 s[8:23], s[4:5], 0x60
	s_load_dwordx2 s[6:7], s[4:5], 0x0
	s_waitcnt lgkmcnt(0)
	v_mad_u64_u32 v[4:5], s[0:1], v2, s10, 0
	v_mov_b32_e32 v10, v5
	v_mad_u64_u32 v[10:11], s[0:1], v2, s11, v[10:11]
	v_mov_b32_e32 v5, v10
	v_cmp_lt_i64_e64 s[0:1], s[26:27], 0
	s_mov_b64 s[10:11], 0
	s_and_b64 vcc, exec, s[0:1]
	v_mul_lo_u32 v18, v1, s8
	v_mul_lo_u32 v19, v0, s9
	v_lshlrev_b64 v[4:5], 2, v[4:5]
	s_cbranch_vccnz .LBB13_10
; %bb.2:
	s_load_dwordx2 s[34:35], s[4:5], 0xc0
	s_load_dwordx4 s[0:3], s[4:5], 0x40
	s_load_dwordx4 s[44:47], s[4:5], 0x18
	s_load_dwordx8 s[36:43], s[4:5], 0xa0
	v_mul_lo_u32 v21, v1, s22
	s_waitcnt lgkmcnt(0)
	v_mov_b32_e32 v11, s35
	v_add_co_u32_e32 v10, vcc, s34, v8
	v_addc_co_u32_e32 v11, vcc, v11, v9, vcc
	global_load_dwordx2 v[12:13], v[10:11], off
	v_mov_b32_e32 v10, s3
	v_add_co_u32_e32 v8, vcc, s2, v8
	v_addc_co_u32_e32 v9, vcc, v10, v9, vcc
	global_load_dwordx2 v[14:15], v[8:9], off
	s_lshl_b64 s[2:3], s[26:27], 1
	v_mad_u64_u32 v[8:9], s[26:27], v2, s20, 0
	v_mul_lo_u32 v22, v0, s23
	v_mad_u64_u32 v[10:11], s[22:23], v0, s22, 0
	v_mad_u64_u32 v[16:17], s[22:23], v0, s8, 0
	v_mov_b32_e32 v23, s7
	v_mov_b32_e32 v20, v9
	v_add3_u32 v11, v11, v22, v21
	v_add3_u32 v17, v17, v19, v18
	v_add_co_u32_e32 v22, vcc, s6, v4
	v_addc_co_u32_e32 v23, vcc, v23, v5, vcc
	v_mad_u64_u32 v[20:21], s[20:21], v2, s21, v[20:21]
	v_lshlrev_b64 v[16:17], 2, v[16:17]
	v_mov_b32_e32 v9, v20
	v_add_co_u32_e32 v20, vcc, v22, v16
	v_addc_co_u32_e32 v21, vcc, v23, v17, vcc
	v_lshlrev_b64 v[8:9], 2, v[8:9]
	v_mad_u64_u32 v[16:17], s[20:21], v2, s38, 0
	v_mov_b32_e32 v25, s45
	v_mov_b32_e32 v24, v17
	v_add_co_u32_e32 v8, vcc, s44, v8
	v_lshlrev_b64 v[10:11], 2, v[10:11]
	v_addc_co_u32_e32 v9, vcc, v25, v9, vcc
	v_mad_u64_u32 v[24:25], s[34:35], v2, s39, v[24:25]
	v_add_co_u32_e32 v8, vcc, v8, v10
	v_mov_b32_e32 v17, v24
	v_mul_lo_u32 v27, v1, s40
	v_mul_lo_u32 v28, v0, s41
	v_mad_u64_u32 v[22:23], s[20:21], v0, s40, 0
	v_addc_co_u32_e32 v9, vcc, v9, v11, vcc
	v_lshlrev_b64 v[16:17], 2, v[16:17]
	v_mov_b32_e32 v29, s47
	v_add3_u32 v23, v23, v28, v27
	v_add_co_u32_e32 v16, vcc, s46, v16
	v_lshlrev_b64 v[10:11], 2, v[22:23]
	v_addc_co_u32_e32 v17, vcc, v29, v17, vcc
	v_add_co_u32_e32 v10, vcc, v16, v10
	v_addc_co_u32_e32 v11, vcc, v17, v11, vcc
	v_mov_b32_e32 v26, s1
	s_mov_b32 s23, 0
	s_mov_b32 s9, 0xff800000
	s_mov_b32 s33, 0x3fb8aa3b
	s_mov_b32 s48, 0xc2ce8ed0
	s_mov_b32 s49, 0x42b17218
	s_mov_b32 s50, 0x7f800000
	s_lshl_b64 s[20:21], s[36:37], 2
	s_lshl_b64 s[26:27], s[42:43], 2
	s_mov_b32 s38, 0x800000
	s_mov_b32 s39, 0x3f317217
	v_mov_b32_e32 v24, 0x7f800000
	v_mov_b32_e32 v25, 0x4f800000
	s_waitcnt vmcnt(1)
	v_lshlrev_b64 v[16:17], 3, v[12:13]
	v_add_co_u32_e32 v22, vcc, s0, v16
	v_addc_co_u32_e32 v23, vcc, v26, v17, vcc
	v_mov_b32_e32 v26, 0x41b17218
	s_waitcnt vmcnt(0)
	v_lshlrev_b64 v[12:13], 1, v[14:15]
	s_branch .LBB13_5
.LBB13_3:                               ;   in Loop: Header=BB13_5 Depth=1
	s_or_b64 exec, exec, s[36:37]
	global_store_dword v[14:15], v17, off
.LBB13_4:                               ;   in Loop: Header=BB13_5 Depth=1
	s_or_b64 exec, exec, s[34:35]
	v_mov_b32_e32 v14, s21
	v_add_co_u32_e32 v8, vcc, s20, v8
	s_add_u32 s10, s10, 1
	v_addc_co_u32_e32 v9, vcc, v9, v14, vcc
	s_addc_u32 s11, s11, 0
	v_mov_b32_e32 v14, s27
	v_add_co_u32_e32 v10, vcc, s26, v10
	v_addc_co_u32_e32 v11, vcc, v11, v14, vcc
	v_pk_mov_b32 v[14:15], s[10:11], s[10:11] op_sel:[0,1]
	v_cmp_lt_i64_e32 vcc, s[2:3], v[14:15]
	s_cbranch_vccnz .LBB13_10
.LBB13_5:                               ; =>This Inner Loop Header: Depth=1
	v_cmp_le_i64_e32 vcc, s[10:11], v[12:13]
	s_and_saveexec_b64 s[34:35], vcc
	s_cbranch_execz .LBB13_4
; %bb.6:                                ;   in Loop: Header=BB13_5 Depth=1
	s_and_b32 s22, s10, 1
	s_cmp_eq_u64 s[22:23], 0
	v_pk_mov_b32 v[14:15], s[30:31], s[30:31] op_sel:[0,1]
	s_cbranch_scc1 .LBB13_8
; %bb.7:                                ;   in Loop: Header=BB13_5 Depth=1
	v_mov_b32_e32 v14, s10
	v_alignbit_b32 v14, s11, v14, 1
	v_mul_lo_u32 v15, v14, s25
	v_mul_hi_u32 v16, v14, s24
	s_lshr_b32 s0, s11, 1
	v_add_u32_e32 v15, v16, v15
	s_mul_i32 s0, s0, s24
	v_add_u32_e32 v15, s0, v15
	v_mul_lo_u32 v14, v14, s24
	v_lshlrev_b64 v[14:15], 3, v[14:15]
	v_add_co_u32_e32 v14, vcc, v22, v14
	v_addc_co_u32_e32 v15, vcc, v23, v15, vcc
	global_load_dwordx2 v[14:15], v[14:15], off
.LBB13_8:                               ;   in Loop: Header=BB13_5 Depth=1
	s_waitcnt vmcnt(0)
	v_mul_lo_u32 v16, v15, s12
	v_mul_lo_u32 v28, v14, s13
	v_mad_u64_u32 v[14:15], s[0:1], v14, s12, 0
	v_add3_u32 v15, v15, v28, v16
	v_lshlrev_b64 v[14:15], 2, v[14:15]
	v_add_co_u32_e32 v14, vcc, v20, v14
	v_addc_co_u32_e32 v15, vcc, v21, v15, vcc
	global_load_dword v17, v[8:9], off
	global_load_dword v27, v[10:11], off
	;; [unrolled: 1-line block ×3, first 2 shown]
	s_waitcnt vmcnt(1)
	v_add_f32_e32 v17, v17, v27
	s_waitcnt vmcnt(0)
	v_cmp_neq_f32_e32 vcc, s9, v16
	s_and_saveexec_b64 s[36:37], vcc
	s_cbranch_execz .LBB13_3
; %bb.9:                                ;   in Loop: Header=BB13_5 Depth=1
	v_cmp_gt_f32_e32 vcc, v16, v17
	v_cndmask_b32_e32 v28, v17, v16, vcc
	v_pk_add_f32 v[16:17], v[16:17], v[28:29] op_sel_hi:[1,0] neg_lo:[0,1] neg_hi:[0,1]
	v_mul_f32_e32 v27, 0x3fb8aa3b, v17
	v_fma_f32 v29, v17, s33, -v27
	v_rndne_f32_e32 v30, v27
	v_fmac_f32_e32 v29, 0x32a5705f, v17
	v_sub_f32_e32 v27, v27, v30
	v_add_f32_e32 v27, v27, v29
	v_exp_f32_e32 v27, v27
	v_cvt_i32_f32_e32 v29, v30
	v_cmp_ngt_f32_e32 vcc, s48, v17
	v_ldexp_f32 v27, v27, v29
	v_mul_f32_e32 v29, 0x3fb8aa3b, v16
	v_fma_f32 v30, v16, s33, -v29
	v_rndne_f32_e32 v31, v29
	v_fmac_f32_e32 v30, 0x32a5705f, v16
	v_sub_f32_e32 v29, v29, v31
	v_add_f32_e32 v29, v29, v30
	v_exp_f32_e32 v29, v29
	v_cvt_i32_f32_e32 v30, v31
	v_cndmask_b32_e32 v27, 0, v27, vcc
	v_cmp_nlt_f32_e32 vcc, s49, v17
	v_cndmask_b32_e32 v17, v24, v27, vcc
	v_ldexp_f32 v27, v29, v30
	v_cmp_ngt_f32_e32 vcc, s48, v16
	v_cndmask_b32_e32 v27, 0, v27, vcc
	v_cmp_nlt_f32_e32 vcc, s49, v16
	v_cndmask_b32_e32 v16, v24, v27, vcc
	v_add_f32_e32 v16, v16, v17
	v_cmp_gt_f32_e32 vcc, s38, v16
	v_cndmask_b32_e32 v17, 1.0, v25, vcc
	v_mul_f32_e32 v16, v16, v17
	v_log_f32_e32 v16, v16
	v_mul_f32_e32 v17, 0x3f317217, v16
	v_fma_f32 v27, v16, s39, -v17
	v_fmac_f32_e32 v27, 0x3377d1cf, v16
	v_add_f32_e32 v17, v17, v27
	v_cmp_lt_f32_e64 s[0:1], |v16|, s50
	v_cndmask_b32_e64 v16, v16, v17, s[0:1]
	v_cndmask_b32_e32 v17, 0, v26, vcc
	v_sub_f32_e32 v16, v16, v17
	v_add_f32_e32 v17, v28, v16
	s_branch .LBB13_3
.LBB13_10:
	v_cmp_lt_i64_e64 s[0:1], s[28:29], 1
	s_and_b64 vcc, exec, s[0:1]
	s_cbranch_vccnz .LBB13_15
; %bb.11:
	s_load_dwordx2 s[0:1], s[4:5], 0x58
	s_load_dwordx4 s[20:23], s[4:5], 0x8
	s_load_dwordx2 s[2:3], s[4:5], 0x28
	v_lshlrev_b64 v[8:9], 2, v[2:3]
	v_mul_lo_u32 v14, v0, s15
	s_waitcnt lgkmcnt(0)
	v_mov_b32_e32 v3, s1
	v_add_co_u32_e32 v8, vcc, s0, v8
	v_mad_u64_u32 v[10:11], s[0:1], v2, s22, 0
	v_mov_b32_e32 v12, v11
	v_mad_u64_u32 v[12:13], s[0:1], v2, s23, v[12:13]
	v_addc_co_u32_e32 v9, vcc, v3, v9, vcc
	v_mov_b32_e32 v11, v12
	global_load_dword v8, v[8:9], off
	v_lshlrev_b64 v[10:11], 2, v[10:11]
	v_mov_b32_e32 v3, s21
	v_add_co_u32_e32 v10, vcc, s20, v10
	v_addc_co_u32_e32 v11, vcc, v3, v11, vcc
	global_load_dword v9, v[10:11], off
	v_mad_u64_u32 v[10:11], s[0:1], v2, s16, 0
	v_mad_u64_u32 v[12:13], s[0:1], v0, s8, 0
	s_waitcnt vmcnt(2)
	v_cmp_lt_i64_e32 vcc, v[0:1], v[6:7]
	v_mul_lo_u32 v7, v1, s14
	v_mad_u64_u32 v[0:1], s[0:1], v0, s14, 0
	v_mov_b32_e32 v3, s7
	v_mov_b32_e32 v6, v11
	v_add3_u32 v13, v13, v19, v18
	v_add_co_u32_e64 v15, s[0:1], s6, v4
	s_load_dword s4, s[4:5], 0xe8
	v_addc_co_u32_e64 v16, s[0:1], v3, v5, s[0:1]
	v_add3_u32 v1, v1, v14, v7
	v_mad_u64_u32 v[2:3], s[0:1], v2, s17, v[6:7]
	v_lshlrev_b64 v[4:5], 2, v[12:13]
	v_lshlrev_b64 v[6:7], 2, v[0:1]
	v_mov_b32_e32 v11, v2
	v_add_co_u32_e64 v0, s[0:1], v15, v4
	v_addc_co_u32_e64 v1, s[0:1], v16, v5, s[0:1]
	v_lshlrev_b64 v[2:3], 2, v[10:11]
	v_mov_b32_e32 v4, s3
	v_add_co_u32_e64 v2, s[0:1], s2, v2
	v_addc_co_u32_e64 v3, s[0:1], v4, v3, s[0:1]
	s_waitcnt lgkmcnt(0)
	s_bitcmp1_b32 s4, 0
	v_add_co_u32_e64 v2, s[0:1], v2, v6
	s_mov_b32 s11, 0x7f800000
	s_cselect_b64 s[6:7], -1, 0
	v_addc_co_u32_e64 v3, s[0:1], v3, v7, s[0:1]
	s_xor_b64 s[6:7], s[6:7], -1
	s_lshl_b64 s[2:3], s[18:19], 2
	s_lshl_b64 s[4:5], s[12:13], 2
	s_mov_b32 s8, 0x3fb8aa3b
	s_mov_b32 s9, 0xc2ce8ed0
	;; [unrolled: 1-line block ×3, first 2 shown]
	v_mov_b32_e32 v4, s3
	v_mov_b32_e32 v5, 0x7f800000
	;; [unrolled: 1-line block ×3, first 2 shown]
	s_waitcnt vmcnt(1)
	v_cmp_neq_f32_e64 s[0:1], s11, v8
	s_or_b64 s[0:1], s[6:7], s[0:1]
	s_and_b64 s[0:1], vcc, s[0:1]
	s_branch .LBB13_13
.LBB13_12:                              ;   in Loop: Header=BB13_13 Depth=1
	s_or_b64 exec, exec, s[6:7]
	v_add_co_u32_e32 v2, vcc, s2, v2
	s_add_u32 s28, s28, -1
	v_addc_co_u32_e32 v3, vcc, v3, v4, vcc
	global_store_dword v[0:1], v7, off
	s_addc_u32 s29, s29, -1
	v_add_co_u32_e32 v0, vcc, s4, v0
	s_cmp_lg_u64 s[28:29], 0
	v_addc_co_u32_e32 v1, vcc, v1, v6, vcc
	s_cbranch_scc0 .LBB13_15
.LBB13_13:                              ; =>This Inner Loop Header: Depth=1
	v_mov_b32_e32 v7, 0
	s_and_saveexec_b64 s[6:7], s[0:1]
	s_cbranch_execz .LBB13_12
; %bb.14:                               ;   in Loop: Header=BB13_13 Depth=1
	global_load_dword v7, v[2:3], off
	global_load_dword v10, v[0:1], off
	s_waitcnt vmcnt(1)
	v_mul_f32_e32 v11, 0x3fb8aa3b, v7
	s_waitcnt vmcnt(0)
	v_add_f32_e32 v10, v8, v10
	v_rndne_f32_e32 v12, v11
	v_fma_f32 v13, v7, s8, -v11
	v_sub_f32_e32 v10, v10, v7
	v_sub_f32_e32 v11, v11, v12
	v_fmac_f32_e32 v13, 0x32a5705f, v7
	v_mul_f32_e32 v14, 0x3fb8aa3b, v10
	v_add_f32_e32 v11, v11, v13
	v_fma_f32 v13, v10, s8, -v14
	v_rndne_f32_e32 v15, v14
	v_cvt_i32_f32_e32 v12, v12
	v_exp_f32_e32 v11, v11
	v_fmac_f32_e32 v13, 0x32a5705f, v10
	v_sub_f32_e32 v14, v14, v15
	v_add_f32_e32 v13, v14, v13
	v_cvt_i32_f32_e32 v15, v15
	v_exp_f32_e32 v13, v13
	v_ldexp_f32 v11, v11, v12
	v_cmp_ngt_f32_e32 vcc, s9, v7
	v_cndmask_b32_e32 v11, 0, v11, vcc
	v_cmp_nlt_f32_e32 vcc, s10, v7
	v_cndmask_b32_e32 v7, v5, v11, vcc
	v_ldexp_f32 v11, v13, v15
	v_cmp_ngt_f32_e32 vcc, s9, v10
	v_cndmask_b32_e32 v11, 0, v11, vcc
	v_cmp_nlt_f32_e32 vcc, s10, v10
	v_cndmask_b32_e32 v10, v5, v11, vcc
	v_sub_f32_e32 v7, v7, v10
	v_mul_f32_e32 v7, v9, v7
	s_branch .LBB13_12
.LBB13_15:
	s_endpgm
	.section	.rodata,"a",@progbits
	.p2align	6, 0x0
	.amdhsa_kernel _ZN2at6native12_GLOBAL__N_136ctc_loss_backward_collect_gpu_kernelIflEEvPT_PKS3_lS6_S6_S6_PKllPKT0_S8_lS6_llllllllllllS8_llllb
		.amdhsa_group_segment_fixed_size 0
		.amdhsa_private_segment_fixed_size 0
		.amdhsa_kernarg_size 496
		.amdhsa_user_sgpr_count 6
		.amdhsa_user_sgpr_private_segment_buffer 1
		.amdhsa_user_sgpr_dispatch_ptr 0
		.amdhsa_user_sgpr_queue_ptr 0
		.amdhsa_user_sgpr_kernarg_segment_ptr 1
		.amdhsa_user_sgpr_dispatch_id 0
		.amdhsa_user_sgpr_flat_scratch_init 0
		.amdhsa_user_sgpr_kernarg_preload_length 0
		.amdhsa_user_sgpr_kernarg_preload_offset 0
		.amdhsa_user_sgpr_private_segment_size 0
		.amdhsa_uses_dynamic_stack 0
		.amdhsa_system_sgpr_private_segment_wavefront_offset 0
		.amdhsa_system_sgpr_workgroup_id_x 1
		.amdhsa_system_sgpr_workgroup_id_y 1
		.amdhsa_system_sgpr_workgroup_id_z 0
		.amdhsa_system_sgpr_workgroup_info 0
		.amdhsa_system_vgpr_workitem_id 1
		.amdhsa_next_free_vgpr 32
		.amdhsa_next_free_sgpr 51
		.amdhsa_accum_offset 32
		.amdhsa_reserve_vcc 1
		.amdhsa_reserve_flat_scratch 0
		.amdhsa_float_round_mode_32 0
		.amdhsa_float_round_mode_16_64 0
		.amdhsa_float_denorm_mode_32 3
		.amdhsa_float_denorm_mode_16_64 3
		.amdhsa_dx10_clamp 1
		.amdhsa_ieee_mode 1
		.amdhsa_fp16_overflow 0
		.amdhsa_tg_split 0
		.amdhsa_exception_fp_ieee_invalid_op 0
		.amdhsa_exception_fp_denorm_src 0
		.amdhsa_exception_fp_ieee_div_zero 0
		.amdhsa_exception_fp_ieee_overflow 0
		.amdhsa_exception_fp_ieee_underflow 0
		.amdhsa_exception_fp_ieee_inexact 0
		.amdhsa_exception_int_div_zero 0
	.end_amdhsa_kernel
	.section	.text._ZN2at6native12_GLOBAL__N_136ctc_loss_backward_collect_gpu_kernelIflEEvPT_PKS3_lS6_S6_S6_PKllPKT0_S8_lS6_llllllllllllS8_llllb,"axG",@progbits,_ZN2at6native12_GLOBAL__N_136ctc_loss_backward_collect_gpu_kernelIflEEvPT_PKS3_lS6_S6_S6_PKllPKT0_S8_lS6_llllllllllllS8_llllb,comdat
.Lfunc_end13:
	.size	_ZN2at6native12_GLOBAL__N_136ctc_loss_backward_collect_gpu_kernelIflEEvPT_PKS3_lS6_S6_S6_PKllPKT0_S8_lS6_llllllllllllS8_llllb, .Lfunc_end13-_ZN2at6native12_GLOBAL__N_136ctc_loss_backward_collect_gpu_kernelIflEEvPT_PKS3_lS6_S6_S6_PKllPKT0_S8_lS6_llllllllllllS8_llllb
                                        ; -- End function
	.section	.AMDGPU.csdata,"",@progbits
; Kernel info:
; codeLenInByte = 1832
; NumSgprs: 55
; NumVgprs: 32
; NumAgprs: 0
; TotalNumVgprs: 32
; ScratchSize: 0
; MemoryBound: 0
; FloatMode: 240
; IeeeMode: 1
; LDSByteSize: 0 bytes/workgroup (compile time only)
; SGPRBlocks: 6
; VGPRBlocks: 3
; NumSGPRsForWavesPerEU: 55
; NumVGPRsForWavesPerEU: 32
; AccumOffset: 32
; Occupancy: 8
; WaveLimiterHint : 1
; COMPUTE_PGM_RSRC2:SCRATCH_EN: 0
; COMPUTE_PGM_RSRC2:USER_SGPR: 6
; COMPUTE_PGM_RSRC2:TRAP_HANDLER: 0
; COMPUTE_PGM_RSRC2:TGID_X_EN: 1
; COMPUTE_PGM_RSRC2:TGID_Y_EN: 1
; COMPUTE_PGM_RSRC2:TGID_Z_EN: 0
; COMPUTE_PGM_RSRC2:TIDIG_COMP_CNT: 1
; COMPUTE_PGM_RSRC3_GFX90A:ACCUM_OFFSET: 7
; COMPUTE_PGM_RSRC3_GFX90A:TG_SPLIT: 0
	.section	.text._ZN2at6native12_GLOBAL__N_130ctc_loss_zero_padded_gradientsIfEEvPT_PKlllllll,"axG",@progbits,_ZN2at6native12_GLOBAL__N_130ctc_loss_zero_padded_gradientsIfEEvPT_PKlllllll,comdat
	.globl	_ZN2at6native12_GLOBAL__N_130ctc_loss_zero_padded_gradientsIfEEvPT_PKlllllll ; -- Begin function _ZN2at6native12_GLOBAL__N_130ctc_loss_zero_padded_gradientsIfEEvPT_PKlllllll
	.p2align	8
	.type	_ZN2at6native12_GLOBAL__N_130ctc_loss_zero_padded_gradientsIfEEvPT_PKlllllll,@function
_ZN2at6native12_GLOBAL__N_130ctc_loss_zero_padded_gradientsIfEEvPT_PKlllllll: ; @_ZN2at6native12_GLOBAL__N_130ctc_loss_zero_padded_gradientsIfEEvPT_PKlllllll
; %bb.0:
	s_load_dword s16, s[4:5], 0x4c
	s_load_dwordx4 s[0:3], s[4:5], 0x30
	s_load_dwordx8 s[8:15], s[4:5], 0x10
	v_bfe_u32 v1, v0, 10, 10
	v_mov_b32_e32 v3, 0
	s_waitcnt lgkmcnt(0)
	s_lshr_b32 s17, s16, 16
	s_mul_i32 s7, s7, s17
	v_add_u32_e32 v2, s7, v1
	v_and_b32_e32 v0, 0x3ff, v0
	v_mov_b32_e32 v1, v3
	s_and_b32 s7, s16, 0xffff
	v_mov_b32_e32 v4, s6
	v_mad_u64_u32 v[0:1], s[6:7], s7, v4, v[0:1]
	v_cmp_gt_i64_e32 vcc, s[0:1], v[2:3]
	v_cmp_gt_i64_e64 s[0:1], s[14:15], v[0:1]
	s_and_b64 s[0:1], vcc, s[0:1]
	s_and_saveexec_b64 s[6:7], s[0:1]
	s_cbranch_execz .LBB14_11
; %bb.1:
	s_load_dwordx2 s[0:1], s[4:5], 0x8
	v_lshlrev_b64 v[4:5], 3, v[2:3]
	s_mov_b64 s[6:7], 0
	s_waitcnt lgkmcnt(0)
	v_mov_b32_e32 v3, s1
	v_add_co_u32_e32 v4, vcc, s0, v4
	v_addc_co_u32_e32 v5, vcc, v3, v5, vcc
	global_load_dwordx2 v[4:5], v[4:5], off
	v_ffbh_u32_e32 v3, v1
	v_min_u32_e32 v3, 32, v3
	v_lshlrev_b64 v[6:7], v3, v[0:1]
	v_min_u32_e32 v6, 1, v6
	v_or_b32_e32 v6, v7, v6
	v_cvt_f32_u32_e32 v6, v6
	v_sub_u32_e32 v3, 32, v3
	v_cmp_gt_i64_e64 s[0:1], s[2:3], 0
	v_ldexp_f32 v3, v6, v3
	s_waitcnt vmcnt(0)
	v_xor_b32_e32 v7, v4, v5
	v_ffbh_i32_e32 v8, v5
	v_ashrrev_i32_e32 v7, 31, v7
	v_add_u32_e32 v8, -1, v8
	v_add_u32_e32 v7, 32, v7
	v_min_u32_e32 v7, v8, v7
	v_lshlrev_b64 v[4:5], v7, v[4:5]
	v_min_u32_e32 v4, 1, v4
	v_or_b32_e32 v4, v5, v4
	v_cvt_f32_i32_e32 v4, v4
	v_sub_u32_e32 v5, 32, v7
	v_ldexp_f32 v4, v4, v5
	v_cmp_ge_f32_e32 vcc, v3, v4
	s_and_b64 s[0:1], vcc, s[0:1]
	s_and_b64 exec, exec, s[0:1]
	s_cbranch_execz .LBB14_11
; %bb.2:
	s_load_dwordx2 s[0:1], s[4:5], 0x0
	s_cmp_eq_u64 s[12:13], 1
	v_cmp_gt_u64_e64 s[4:5], s[2:3], 3
	s_cselect_b64 s[14:15], -1, 0
	s_and_b64 s[4:5], s[4:5], s[14:15]
	s_and_b64 vcc, exec, s[4:5]
	v_mul_lo_u32 v3, s9, v0
	v_mul_lo_u32 v1, s8, v1
	s_cbranch_vccnz .LBB14_4
; %bb.3:
	v_mad_u64_u32 v[6:7], s[4:5], s10, v2, 0
	v_mov_b32_e32 v8, v7
	v_mad_u64_u32 v[4:5], s[4:5], s8, v0, 0
	v_mad_u64_u32 v[8:9], s[4:5], s11, v2, v[8:9]
	v_add3_u32 v5, v5, v1, v3
	v_mov_b32_e32 v7, v8
	v_lshlrev_b64 v[4:5], 2, v[4:5]
	v_lshlrev_b64 v[6:7], 2, v[6:7]
	s_mov_b64 s[6:7], -1
	s_mov_b64 s[4:5], 0
	s_cbranch_execz .LBB14_5
	s_branch .LBB14_8
.LBB14_4:
                                        ; implicit-def: $sgpr4_sgpr5
                                        ; implicit-def: $vgpr4_vgpr5
                                        ; implicit-def: $vgpr6_vgpr7
.LBB14_5:
	v_mad_u64_u32 v[4:5], s[6:7], s8, v0, 0
	v_add3_u32 v5, v5, v1, v3
	v_mad_u64_u32 v[0:1], s[6:7], s10, v2, 0
	v_mov_b32_e32 v6, v1
	v_mad_u64_u32 v[2:3], s[6:7], s11, v2, v[6:7]
	v_mov_b32_e32 v1, v2
	v_lshlrev_b64 v[4:5], 2, v[4:5]
	v_lshlrev_b64 v[6:7], 2, v[0:1]
	v_add_co_u32_e32 v0, vcc, v4, v6
	v_addc_co_u32_e32 v1, vcc, v5, v7, vcc
	s_waitcnt lgkmcnt(0)
	v_mov_b32_e32 v2, s1
	v_add_co_u32_e32 v0, vcc, s0, v0
	v_addc_co_u32_e32 v1, vcc, v1, v2, vcc
	s_and_b32 s5, s3, 0x7fffffff
	s_and_b32 s4, s2, -4
	v_add_co_u32_e32 v8, vcc, 8, v0
	v_mov_b32_e32 v0, 0
	v_addc_co_u32_e32 v9, vcc, 0, v1, vcc
	v_mov_b32_e32 v1, v0
	v_mov_b32_e32 v2, v0
	;; [unrolled: 1-line block ×3, first 2 shown]
	s_mov_b64 s[6:7], s[4:5]
.LBB14_6:                               ; =>This Inner Loop Header: Depth=1
	s_add_u32 s6, s6, -4
	global_store_dwordx4 v[8:9], v[0:3], off offset:-8
	v_add_co_u32_e32 v8, vcc, 16, v8
	s_addc_u32 s7, s7, -1
	s_cmp_lg_u64 s[6:7], 0
	v_addc_co_u32_e32 v9, vcc, 0, v9, vcc
	s_cbranch_scc1 .LBB14_6
; %bb.7:
	s_cmp_lg_u64 s[4:5], s[2:3]
	s_cselect_b64 s[6:7], -1, 0
.LBB14_8:
	s_and_b64 vcc, exec, s[6:7]
	s_cbranch_vccz .LBB14_11
; %bb.9:
	s_mul_i32 s6, s4, s13
	s_mul_hi_u32 s7, s4, s12
	s_add_i32 s6, s7, s6
	s_mul_i32 s7, s5, s12
	s_add_i32 s7, s6, s7
	s_mul_i32 s6, s4, s12
	s_lshl_b64 s[6:7], s[6:7], 2
	v_mov_b32_e32 v0, s7
	v_add_co_u32_e32 v1, vcc, s6, v4
	v_addc_co_u32_e32 v0, vcc, v0, v5, vcc
	v_add_co_u32_e32 v1, vcc, v1, v6
	v_addc_co_u32_e32 v2, vcc, v0, v7, vcc
	s_waitcnt lgkmcnt(0)
	v_mov_b32_e32 v3, s1
	v_add_co_u32_e32 v0, vcc, s0, v1
	s_lshl_b64 s[0:1], s[12:13], 2
	v_addc_co_u32_e32 v1, vcc, v3, v2, vcc
	v_mov_b32_e32 v4, 0
	v_mov_b32_e32 v5, s1
	v_pk_mov_b32 v[2:3], s[2:3], s[2:3] op_sel:[0,1]
.LBB14_10:                              ; =>This Inner Loop Header: Depth=1
	global_store_dword v[0:1], v4, off
	s_add_u32 s4, s4, 1
	v_add_co_u32_e32 v0, vcc, s0, v0
	v_addc_co_u32_e32 v1, vcc, v1, v5, vcc
	s_addc_u32 s5, s5, 0
	v_cmp_lt_i64_e32 vcc, s[4:5], v[2:3]
	s_cbranch_vccnz .LBB14_10
.LBB14_11:
	s_endpgm
	.section	.rodata,"a",@progbits
	.p2align	6, 0x0
	.amdhsa_kernel _ZN2at6native12_GLOBAL__N_130ctc_loss_zero_padded_gradientsIfEEvPT_PKlllllll
		.amdhsa_group_segment_fixed_size 0
		.amdhsa_private_segment_fixed_size 0
		.amdhsa_kernarg_size 320
		.amdhsa_user_sgpr_count 6
		.amdhsa_user_sgpr_private_segment_buffer 1
		.amdhsa_user_sgpr_dispatch_ptr 0
		.amdhsa_user_sgpr_queue_ptr 0
		.amdhsa_user_sgpr_kernarg_segment_ptr 1
		.amdhsa_user_sgpr_dispatch_id 0
		.amdhsa_user_sgpr_flat_scratch_init 0
		.amdhsa_user_sgpr_kernarg_preload_length 0
		.amdhsa_user_sgpr_kernarg_preload_offset 0
		.amdhsa_user_sgpr_private_segment_size 0
		.amdhsa_uses_dynamic_stack 0
		.amdhsa_system_sgpr_private_segment_wavefront_offset 0
		.amdhsa_system_sgpr_workgroup_id_x 1
		.amdhsa_system_sgpr_workgroup_id_y 1
		.amdhsa_system_sgpr_workgroup_id_z 0
		.amdhsa_system_sgpr_workgroup_info 0
		.amdhsa_system_vgpr_workitem_id 1
		.amdhsa_next_free_vgpr 10
		.amdhsa_next_free_sgpr 18
		.amdhsa_accum_offset 12
		.amdhsa_reserve_vcc 1
		.amdhsa_reserve_flat_scratch 0
		.amdhsa_float_round_mode_32 0
		.amdhsa_float_round_mode_16_64 0
		.amdhsa_float_denorm_mode_32 3
		.amdhsa_float_denorm_mode_16_64 3
		.amdhsa_dx10_clamp 1
		.amdhsa_ieee_mode 1
		.amdhsa_fp16_overflow 0
		.amdhsa_tg_split 0
		.amdhsa_exception_fp_ieee_invalid_op 0
		.amdhsa_exception_fp_denorm_src 0
		.amdhsa_exception_fp_ieee_div_zero 0
		.amdhsa_exception_fp_ieee_overflow 0
		.amdhsa_exception_fp_ieee_underflow 0
		.amdhsa_exception_fp_ieee_inexact 0
		.amdhsa_exception_int_div_zero 0
	.end_amdhsa_kernel
	.section	.text._ZN2at6native12_GLOBAL__N_130ctc_loss_zero_padded_gradientsIfEEvPT_PKlllllll,"axG",@progbits,_ZN2at6native12_GLOBAL__N_130ctc_loss_zero_padded_gradientsIfEEvPT_PKlllllll,comdat
.Lfunc_end14:
	.size	_ZN2at6native12_GLOBAL__N_130ctc_loss_zero_padded_gradientsIfEEvPT_PKlllllll, .Lfunc_end14-_ZN2at6native12_GLOBAL__N_130ctc_loss_zero_padded_gradientsIfEEvPT_PKlllllll
                                        ; -- End function
	.section	.AMDGPU.csdata,"",@progbits
; Kernel info:
; codeLenInByte = 688
; NumSgprs: 22
; NumVgprs: 10
; NumAgprs: 0
; TotalNumVgprs: 10
; ScratchSize: 0
; MemoryBound: 0
; FloatMode: 240
; IeeeMode: 1
; LDSByteSize: 0 bytes/workgroup (compile time only)
; SGPRBlocks: 2
; VGPRBlocks: 1
; NumSGPRsForWavesPerEU: 22
; NumVGPRsForWavesPerEU: 10
; AccumOffset: 12
; Occupancy: 8
; WaveLimiterHint : 0
; COMPUTE_PGM_RSRC2:SCRATCH_EN: 0
; COMPUTE_PGM_RSRC2:USER_SGPR: 6
; COMPUTE_PGM_RSRC2:TRAP_HANDLER: 0
; COMPUTE_PGM_RSRC2:TGID_X_EN: 1
; COMPUTE_PGM_RSRC2:TGID_Y_EN: 1
; COMPUTE_PGM_RSRC2:TGID_Z_EN: 0
; COMPUTE_PGM_RSRC2:TIDIG_COMP_CNT: 1
; COMPUTE_PGM_RSRC3_GFX90A:ACCUM_OFFSET: 2
; COMPUTE_PGM_RSRC3_GFX90A:TG_SPLIT: 0
	.section	.text._ZN2at6native12_GLOBAL__N_137ctc_loss_backward_log_beta_gpu_kernelIfiEEvPT_PKS3_PKllPKT0_S8_lllllllS8_lll,"axG",@progbits,_ZN2at6native12_GLOBAL__N_137ctc_loss_backward_log_beta_gpu_kernelIfiEEvPT_PKS3_PKllPKT0_S8_lllllllS8_lll,comdat
	.globl	_ZN2at6native12_GLOBAL__N_137ctc_loss_backward_log_beta_gpu_kernelIfiEEvPT_PKS3_PKllPKT0_S8_lllllllS8_lll ; -- Begin function _ZN2at6native12_GLOBAL__N_137ctc_loss_backward_log_beta_gpu_kernelIfiEEvPT_PKS3_PKllPKT0_S8_lllllllS8_lll
	.p2align	8
	.type	_ZN2at6native12_GLOBAL__N_137ctc_loss_backward_log_beta_gpu_kernelIfiEEvPT_PKS3_PKllPKT0_S8_lllllllS8_lll,@function
_ZN2at6native12_GLOBAL__N_137ctc_loss_backward_log_beta_gpu_kernelIfiEEvPT_PKS3_PKllPKT0_S8_lllllllS8_lll: ; @_ZN2at6native12_GLOBAL__N_137ctc_loss_backward_log_beta_gpu_kernelIfiEEvPT_PKS3_PKllPKT0_S8_lllllllS8_lll
; %bb.0:
	s_load_dword s2, s[4:5], 0x94
	s_load_dwordx4 s[24:27], s[4:5], 0x70
	s_add_u32 s0, s4, 0x88
	s_addc_u32 s1, s5, 0
	v_bfe_u32 v1, v0, 10, 10
	s_waitcnt lgkmcnt(0)
	s_lshr_b32 s2, s2, 16
	s_mul_i32 s7, s7, s2
	v_add_u32_e32 v12, s7, v1
	v_mov_b32_e32 v13, 0
	v_cmp_gt_i64_e32 vcc, s[26:27], v[12:13]
	s_and_saveexec_b64 s[2:3], vcc
	s_cbranch_execz .LBB15_43
; %bb.1:
	s_load_dwordx2 s[2:3], s[4:5], 0x10
	v_lshlrev_b64 v[4:5], 3, v[12:13]
	s_waitcnt lgkmcnt(0)
	v_mov_b32_e32 v1, s3
	v_add_co_u32_e32 v2, vcc, s2, v4
	v_addc_co_u32_e32 v3, vcc, v1, v5, vcc
	global_load_dwordx2 v[2:3], v[2:3], off
	s_waitcnt vmcnt(0)
	v_cmp_ne_u64_e32 vcc, 0, v[2:3]
	s_and_b64 exec, exec, vcc
	s_cbranch_execz .LBB15_43
; %bb.2:
	s_load_dwordx2 s[2:3], s[4:5], 0x28
	s_load_dwordx2 s[6:7], s[4:5], 0x68
	s_waitcnt lgkmcnt(0)
	v_mov_b32_e32 v1, s3
	v_add_co_u32_e32 v6, vcc, s2, v4
	v_addc_co_u32_e32 v7, vcc, v1, v5, vcc
	v_mov_b32_e32 v1, s7
	v_add_co_u32_e32 v4, vcc, s6, v4
	v_addc_co_u32_e32 v5, vcc, v1, v5, vcc
	global_load_dwordx2 v[14:15], v[6:7], off
	s_nop 0
	global_load_dwordx2 v[6:7], v[4:5], off
	s_load_dwordx8 s[8:15], s[4:5], 0x30
	s_load_dword s2, s[0:1], 0xc
	s_mov_b32 s0, 0
	s_waitcnt lgkmcnt(0)
	s_lshl_b64 s[26:27], s[8:9], 1
	s_and_b32 s33, s2, 0xffff
	s_mov_b32 s1, s27
	s_cmp_lg_u64 s[0:1], 0
	s_cbranch_scc0 .LBB15_44
; %bb.3:
	v_cvt_f32_u32_e32 v1, s33
	v_cvt_f32_ubyte0_e32 v4, 0
	s_sub_u32 s2, 0, s33
	s_subb_u32 s3, 0, 0
	v_madmk_f32 v1, v4, 0x4f800000, v1
	v_rcp_f32_e32 v1, v1
	v_mul_f32_e32 v1, 0x5f7ffffc, v1
	v_mul_f32_e32 v4, 0x2f800000, v1
	v_trunc_f32_e32 v4, v4
	v_madmk_f32 v1, v4, 0xcf800000, v1
	v_cvt_u32_f32_e32 v4, v4
	v_cvt_u32_f32_e32 v1, v1
	v_readfirstlane_b32 s6, v4
	v_readfirstlane_b32 s7, v1
	s_mul_i32 s8, s2, s6
	s_mul_hi_u32 s16, s2, s7
	s_mul_i32 s9, s3, s7
	s_add_i32 s8, s16, s8
	s_add_i32 s8, s8, s9
	s_mul_i32 s17, s2, s7
	s_mul_hi_u32 s9, s7, s8
	s_mul_i32 s16, s7, s8
	s_mul_hi_u32 s7, s7, s17
	s_add_u32 s7, s7, s16
	s_addc_u32 s9, 0, s9
	s_mul_hi_u32 s18, s6, s17
	s_mul_i32 s17, s6, s17
	s_add_u32 s7, s7, s17
	s_mul_hi_u32 s16, s6, s8
	s_addc_u32 s7, s9, s18
	s_addc_u32 s9, s16, 0
	s_mul_i32 s8, s6, s8
	s_add_u32 s7, s7, s8
	s_addc_u32 s8, 0, s9
	v_add_co_u32_e32 v1, vcc, s7, v1
	s_cmp_lg_u64 vcc, 0
	s_addc_u32 s6, s6, s8
	v_readfirstlane_b32 s8, v1
	s_mul_i32 s7, s2, s6
	s_mul_hi_u32 s9, s2, s8
	s_add_i32 s7, s9, s7
	s_mul_i32 s3, s3, s8
	s_add_i32 s7, s7, s3
	s_mul_i32 s2, s2, s8
	s_mul_hi_u32 s9, s6, s2
	s_mul_i32 s16, s6, s2
	s_mul_i32 s18, s8, s7
	s_mul_hi_u32 s2, s8, s2
	s_mul_hi_u32 s17, s8, s7
	s_add_u32 s2, s2, s18
	s_addc_u32 s8, 0, s17
	s_add_u32 s2, s2, s16
	s_mul_hi_u32 s3, s6, s7
	s_addc_u32 s2, s8, s9
	s_addc_u32 s3, s3, 0
	s_mul_i32 s7, s6, s7
	s_add_u32 s2, s2, s7
	s_addc_u32 s3, 0, s3
	v_add_co_u32_e32 v1, vcc, s2, v1
	s_cmp_lg_u64 vcc, 0
	s_addc_u32 s8, s6, s3
	s_ashr_i32 s2, s27, 31
	s_add_u32 s6, s26, s2
	s_mov_b32 s3, s2
	s_addc_u32 s7, s27, s2
	s_xor_b64 s[6:7], s[6:7], s[2:3]
	v_readfirstlane_b32 s16, v1
	s_mul_i32 s9, s6, s8
	s_mul_hi_u32 s17, s6, s16
	s_mul_hi_u32 s3, s6, s8
	s_add_u32 s9, s17, s9
	s_addc_u32 s3, 0, s3
	s_mul_hi_u32 s18, s7, s16
	s_mul_i32 s16, s7, s16
	s_add_u32 s9, s9, s16
	s_mul_hi_u32 s17, s7, s8
	s_addc_u32 s3, s3, s18
	s_addc_u32 s9, s17, 0
	s_mul_i32 s8, s7, s8
	s_add_u32 s3, s3, s8
	s_addc_u32 s8, 0, s9
	s_mul_hi_u32 s9, s33, s3
	s_mul_i32 s3, s33, s3
	s_mul_i32 s8, s33, s8
	v_mov_b32_e32 v1, s3
	s_add_i32 s9, s9, s8
	v_sub_co_u32_e32 v1, vcc, s6, v1
	s_cmp_lg_u64 vcc, 0
	s_subb_u32 s3, s7, s9
	v_subrev_co_u32_e32 v4, vcc, s33, v1
	s_cmp_lg_u64 vcc, 0
	s_subb_u32 s6, s3, 0
	v_subrev_co_u32_e32 v5, vcc, s33, v4
	s_cmp_lg_u64 vcc, 0
	s_subb_u32 s7, s6, 0
	v_cmp_le_u32_e32 vcc, s33, v4
	s_cmp_eq_u32 s6, 0
	v_cndmask_b32_e64 v8, 0, -1, vcc
	s_cselect_b64 vcc, -1, 0
	v_cndmask_b32_e32 v8, -1, v8, vcc
	v_mov_b32_e32 v9, s6
	v_mov_b32_e32 v10, s7
	v_cmp_ne_u32_e32 vcc, 0, v8
	v_cndmask_b32_e32 v8, v9, v10, vcc
	v_cndmask_b32_e32 v4, v4, v5, vcc
	v_cmp_le_u32_e32 vcc, s33, v1
	s_cmp_eq_u32 s3, 0
	v_cndmask_b32_e64 v5, 0, -1, vcc
	s_cselect_b64 vcc, -1, 0
	v_cndmask_b32_e32 v5, -1, v5, vcc
	v_cmp_ne_u32_e32 vcc, 0, v5
	v_mov_b32_e32 v9, s3
	v_cndmask_b32_e32 v1, v1, v4, vcc
	v_cndmask_b32_e32 v5, v9, v8, vcc
	v_xor_b32_e32 v1, s2, v1
	v_xor_b32_e32 v4, s2, v5
	v_mov_b32_e32 v5, s2
	v_subrev_co_u32_e32 v20, vcc, s2, v1
	v_subb_co_u32_e32 v21, vcc, v4, v5, vcc
	s_cbranch_execnz .LBB15_5
.LBB15_4:
	v_cvt_f32_u32_e32 v1, s33
	s_sub_i32 s0, 0, s33
	s_mov_b32 s1, 0
	v_rcp_iflag_f32_e32 v1, v1
	v_mul_f32_e32 v1, 0x4f7ffffe, v1
	v_cvt_u32_f32_e32 v1, v1
	v_readfirstlane_b32 s2, v1
	s_mul_i32 s0, s0, s2
	s_mul_hi_u32 s0, s2, s0
	s_add_i32 s2, s2, s0
	s_mul_hi_u32 s0, s26, s2
	s_mul_i32 s0, s0, s33
	s_sub_i32 s0, s26, s0
	s_sub_i32 s2, s0, s33
	s_cmp_ge_u32 s0, s33
	s_cselect_b32 s0, s2, s0
	s_sub_i32 s2, s0, s33
	s_cmp_ge_u32 s0, s33
	s_cselect_b32 s0, s2, s0
	v_pk_mov_b32 v[20:21], s[0:1], s[0:1] op_sel:[0,1]
.LBB15_5:
	v_mov_b32_e32 v1, s27
	v_sub_co_u32_e32 v4, vcc, s26, v20
	v_subb_co_u32_e32 v5, vcc, v1, v21, vcc
	v_cmp_gt_i64_e32 vcc, 0, v[4:5]
	s_cbranch_vccnz .LBB15_43
; %bb.6:
	s_load_dwordx2 s[0:1], s[4:5], 0x20
	s_load_dwordx4 s[28:31], s[4:5], 0x0
	s_load_dwordx2 s[34:35], s[4:5], 0x80
	s_load_dwordx8 s[16:23], s[4:5], 0x50
	s_waitcnt vmcnt(0)
	v_lshlrev_b64 v[6:7], 2, v[6:7]
	s_waitcnt lgkmcnt(0)
	v_mov_b32_e32 v8, s1
	v_add_co_u32_e32 v1, vcc, s0, v6
	v_mad_u64_u32 v[16:17], s[0:1], v12, s12, 0
	v_mov_b32_e32 v6, v17
	v_addc_co_u32_e32 v36, vcc, v8, v7, vcc
	v_mad_u64_u32 v[6:7], s[0:1], v12, s13, v[6:7]
	v_mov_b32_e32 v17, v6
	v_lshlrev_b64 v[6:7], 1, v[14:15]
	v_add_co_u32_e32 v8, vcc, -1, v6
	v_addc_co_u32_e32 v9, vcc, -1, v7, vcc
	v_add_co_u32_e32 v10, vcc, -1, v2
	v_addc_co_u32_e32 v11, vcc, -1, v3, vcc
	v_mul_lo_u32 v13, v11, s10
	v_mul_lo_u32 v22, v10, s11
	v_mad_u64_u32 v[18:19], s[0:1], v10, s10, 0
	v_lshlrev_b64 v[16:17], 2, v[16:17]
	v_add3_u32 v19, v19, v22, v13
	v_mov_b32_e32 v13, s31
	v_add_co_u32_e32 v22, vcc, s30, v16
	v_addc_co_u32_e32 v13, vcc, v13, v17, vcc
	v_lshlrev_b64 v[18:19], 2, v[18:19]
	v_add_co_u32_e32 v34, vcc, v22, v18
	v_addc_co_u32_e32 v35, vcc, v13, v19, vcc
	v_alignbit_b32 v13, v9, v8, 1
	v_mul_lo_u32 v22, v13, s25
	v_mad_u64_u32 v[18:19], s[0:1], v13, s24, 0
	v_lshrrev_b32_e32 v13, 1, v9
	v_mul_lo_u32 v13, v13, s24
	v_add3_u32 v19, v19, v22, v13
	v_lshlrev_b64 v[18:19], 2, v[18:19]
	v_add_co_u32_e32 v18, vcc, v1, v18
	v_and_b32_e32 v0, 0x3ff, v0
	v_addc_co_u32_e32 v19, vcc, v36, v19, vcc
	v_mov_b32_e32 v13, s27
	v_add_co_u32_e32 v22, vcc, s26, v0
	v_addc_co_u32_e32 v13, vcc, 0, v13, vcc
	v_sub_co_u32_e32 v22, vcc, v22, v20
	v_subb_co_u32_e32 v23, vcc, v13, v21, vcc
	v_mul_lo_u32 v13, s21, v22
	v_mul_lo_u32 v24, s20, v23
	v_mad_u64_u32 v[20:21], s[0:1], s20, v22, 0
	v_add3_u32 v21, v21, v24, v13
	v_mul_lo_u32 v13, s19, v10
	v_mul_lo_u32 v26, s18, v11
	v_mad_u64_u32 v[24:25], s[0:1], s18, v10, 0
	v_add3_u32 v25, v25, v26, v13
	v_lshlrev_b64 v[20:21], 2, v[20:21]
	v_lshlrev_b64 v[24:25], 2, v[24:25]
	v_add_co_u32_e32 v27, vcc, v20, v24
	v_addc_co_u32_e32 v28, vcc, v21, v25, vcc
	v_mad_u64_u32 v[24:25], s[0:1], s16, v12, 0
	v_mov_b32_e32 v26, v25
	v_mad_u64_u32 v[12:13], s[0:1], s17, v12, v[26:27]
	v_mov_b32_e32 v25, v12
	v_lshlrev_b64 v[12:13], 2, v[24:25]
	v_add_co_u32_e32 v24, vcc, v27, v12
	v_addc_co_u32_e32 v25, vcc, v28, v13, vcc
	v_mov_b32_e32 v26, s29
	v_add_co_u32_e32 v24, vcc, s28, v24
	v_addc_co_u32_e32 v25, vcc, v26, v25, vcc
	s_mul_i32 s0, s21, s33
	s_mul_hi_u32 s1, s20, s33
	s_add_i32 s1, s1, s0
	s_mul_i32 s0, s20, s33
	v_sub_co_u32_e32 v26, vcc, v6, v0
	s_lshl_b64 s[0:1], s[0:1], 2
	v_subbrev_co_u32_e32 v27, vcc, 0, v7, vcc
	s_sub_u32 s40, 0, s0
	v_add_co_u32_e32 v28, vcc, -1, v26
	s_subb_u32 s41, 0, s1
	v_addc_co_u32_e32 v29, vcc, -1, v27, vcc
	v_pk_mov_b32 v[30:31], v[4:5], v[4:5] op_sel:[0,1]
	s_branch .LBB15_8
.LBB15_7:                               ;   in Loop: Header=BB15_8 Depth=1
	s_or_b64 exec, exec, s[0:1]
	v_subrev_co_u32_e32 v30, vcc, s33, v30
	v_subbrev_co_u32_e32 v31, vcc, 0, v31, vcc
	v_mov_b32_e32 v32, s41
	v_add_co_u32_e32 v24, vcc, s40, v24
	v_addc_co_u32_e32 v25, vcc, v25, v32, vcc
	v_cmp_gt_i64_e32 vcc, 0, v[30:31]
	s_cbranch_vccnz .LBB15_16
.LBB15_8:                               ; =>This Inner Loop Header: Depth=1
	v_cmp_ne_u64_e32 vcc, v[26:27], v[30:31]
	v_pk_mov_b32 v[32:33], s[34:35], s[34:35] op_sel:[0,1]
	s_mov_b64 s[2:3], -1
                                        ; implicit-def: $sgpr6
	s_and_saveexec_b64 s[0:1], vcc
	s_cbranch_execz .LBB15_12
; %bb.9:                                ;   in Loop: Header=BB15_8 Depth=1
	v_cmp_eq_u64_e32 vcc, v[28:29], v[30:31]
	s_mov_b64 s[2:3], 0
                                        ; implicit-def: $vgpr32_vgpr33
	s_and_saveexec_b64 s[6:7], vcc
	s_cbranch_execz .LBB15_11
; %bb.10:                               ;   in Loop: Header=BB15_8 Depth=1
	global_load_dword v32, v[18:19], off
	s_mov_b64 s[2:3], exec
	s_waitcnt vmcnt(0)
	v_ashrrev_i32_e32 v33, 31, v32
.LBB15_11:                              ;   in Loop: Header=BB15_8 Depth=1
	s_or_b64 exec, exec, s[6:7]
	s_mov_b32 s6, 0xff800000
	s_orn2_b64 s[2:3], s[2:3], exec
.LBB15_12:                              ;   in Loop: Header=BB15_8 Depth=1
	s_or_b64 exec, exec, s[0:1]
	s_waitcnt vmcnt(0)
	v_mov_b32_e32 v37, s6
	s_and_saveexec_b64 s[0:1], s[2:3]
	s_cbranch_execz .LBB15_14
; %bb.13:                               ;   in Loop: Header=BB15_8 Depth=1
	v_mul_lo_u32 v37, v33, s14
	v_mul_lo_u32 v38, v32, s15
	v_mad_u64_u32 v[32:33], s[2:3], v32, s14, 0
	v_add3_u32 v33, v33, v38, v37
	v_lshlrev_b64 v[32:33], 2, v[32:33]
	v_add_co_u32_e32 v32, vcc, v34, v32
	v_addc_co_u32_e32 v33, vcc, v35, v33, vcc
	global_load_dword v37, v[32:33], off
.LBB15_14:                              ;   in Loop: Header=BB15_8 Depth=1
	s_or_b64 exec, exec, s[0:1]
	v_add_co_u32_e32 v32, vcc, v0, v30
	v_addc_co_u32_e32 v33, vcc, 0, v31, vcc
	v_cmp_ge_i64_e32 vcc, s[26:27], v[32:33]
	s_and_saveexec_b64 s[0:1], vcc
	s_cbranch_execz .LBB15_7
; %bb.15:                               ;   in Loop: Header=BB15_8 Depth=1
	s_waitcnt vmcnt(0)
	global_store_dword v[24:25], v37, off
	s_branch .LBB15_7
.LBB15_16:
	s_load_dwordx2 s[4:5], s[4:5], 0x18
	v_cmp_lt_i64_e64 s[0:1], 0, v[14:15]
	v_cmp_ne_u64_e64 s[2:3], 0, v[14:15]
	s_mov_b32 s46, 0xff800000
	s_mov_b32 s47, 0x3fb8aa3b
	s_waitcnt lgkmcnt(0)
	s_add_u32 s12, s4, -2
	s_addc_u32 s13, s5, -1
	s_mul_hi_u32 s6, s18, s12
	s_mul_i32 s7, s18, s13
	s_add_i32 s6, s6, s7
	s_mul_i32 s7, s19, s12
	s_add_i32 s7, s6, s7
	s_mul_i32 s6, s18, s12
	s_lshl_b64 s[6:7], s[6:7], 2
	s_add_u32 s6, s28, s6
	s_addc_u32 s7, s29, s7
	v_mov_b32_e32 v15, s7
	v_add_co_u32_e32 v14, vcc, s6, v20
	s_lshl_b64 s[6:7], s[18:19], 2
	s_sub_u32 s42, 0, s6
	s_subb_u32 s43, 0, s7
	s_mul_i32 s6, s10, s13
	s_mul_hi_u32 s7, s10, s12
	s_add_i32 s6, s7, s6
	s_mul_i32 s7, s11, s12
	s_add_i32 s7, s6, s7
	s_mul_i32 s6, s10, s12
	s_lshl_b64 s[6:7], s[6:7], 2
	s_add_u32 s6, s30, s6
	v_addc_co_u32_e32 v15, vcc, v15, v21, vcc
	s_addc_u32 s7, s31, s7
	v_mov_b32_e32 v18, s7
	v_add_co_u32_e32 v16, vcc, s6, v16
	s_lshl_b64 s[14:15], s[14:15], 2
	s_lshl_b64 s[6:7], s[10:11], 2
	s_sub_u32 s44, 0, s6
	s_subb_u32 s45, 0, s7
	v_cmp_gt_i64_e64 s[16:17], s[4:5], 1
	s_add_u32 s4, s4, -1
	s_addc_u32 s5, s5, -1
	s_mul_i32 s5, s18, s5
	s_mul_hi_u32 s6, s18, s4
	s_add_i32 s5, s6, s5
	s_mul_i32 s6, s19, s4
	s_add_i32 s5, s5, s6
	s_mul_i32 s4, s18, s4
	s_lshl_b64 s[4:5], s[4:5], 2
	v_addc_co_u32_e32 v17, vcc, v18, v17, vcc
	v_lshlrev_b64 v[18:19], 2, v[22:23]
	s_add_u32 s4, s28, s4
	v_add_co_u32_e32 v24, vcc, 4, v18
	s_addc_u32 s5, s29, s5
	v_addc_co_u32_e32 v25, vcc, 0, v19, vcc
	v_pk_mov_b32 v[18:19], s[4:5], s[4:5] op_sel:[0,1]
	v_mad_u64_u32 v[18:19], s[6:7], s20, v24, v[18:19]
	v_mul_lo_u32 v25, s20, v25
	v_mul_lo_u32 v24, s21, v24
	v_add3_u32 v19, v24, v19, v25
	v_mov_b32_e32 v24, s5
	v_add_co_u32_e32 v20, vcc, s4, v20
	v_addc_co_u32_e32 v21, vcc, v24, v21, vcc
	v_add_co_u32_e32 v22, vcc, 2, v22
	v_addc_co_u32_e32 v23, vcc, 0, v23, vcc
	v_mul_lo_u32 v24, s21, v22
	v_mul_lo_u32 v25, s20, v23
	v_mad_u64_u32 v[22:23], s[6:7], s20, v22, 0
	v_add3_u32 v23, v23, v25, v24
	v_lshlrev_b64 v[22:23], 2, v[22:23]
	v_mov_b32_e32 v24, s5
	v_add_co_u32_e32 v22, vcc, s4, v22
	v_addc_co_u32_e32 v23, vcc, v24, v23, vcc
	s_mov_b32 s48, 0xc2ce8ed0
	s_mov_b32 s49, 0x42b17218
	;; [unrolled: 1-line block ×5, first 2 shown]
	s_waitcnt vmcnt(0)
	v_mov_b32_e32 v37, 0x7f800000
	v_mov_b32_e32 v38, 0x4f800000
	;; [unrolled: 1-line block ×3, first 2 shown]
	s_branch .LBB15_18
.LBB15_17:                              ;   in Loop: Header=BB15_18 Depth=1
	v_subrev_co_u32_e32 v4, vcc, s33, v4
	v_subbrev_co_u32_e32 v5, vcc, 0, v5, vcc
	v_mov_b32_e32 v24, s41
	v_add_co_u32_e32 v14, vcc, s40, v14
	v_addc_co_u32_e32 v15, vcc, v15, v24, vcc
	v_add_co_u32_e32 v18, vcc, s40, v18
	v_addc_co_u32_e32 v19, vcc, v19, v24, vcc
	;; [unrolled: 2-line block ×4, first 2 shown]
	v_cmp_gt_i64_e32 vcc, 0, v[4:5]
	s_cbranch_vccnz .LBB15_43
.LBB15_18:                              ; =>This Loop Header: Depth=1
                                        ;     Child Loop BB15_29 Depth 2
	v_add_co_u32_e32 v24, vcc, v4, v0
	v_addc_co_u32_e32 v25, vcc, 0, v5, vcc
	v_cmp_le_i64_e64 s[4:5], v[24:25], v[6:7]
	s_and_b64 s[6:7], s[0:1], s[4:5]
	v_pk_mov_b32 v[26:27], s[34:35], s[34:35] op_sel:[0,1]
	s_mov_b64 s[10:11], 0
	s_and_saveexec_b64 s[8:9], s[6:7]
	s_cbranch_execz .LBB15_26
; %bb.19:                               ;   in Loop: Header=BB15_18 Depth=1
	v_and_b32_e32 v26, 1, v24
	v_cmp_eq_u32_e32 vcc, 1, v26
	v_pk_mov_b32 v[26:27], s[34:35], s[34:35] op_sel:[0,1]
	s_and_saveexec_b64 s[10:11], vcc
	s_cbranch_execz .LBB15_21
; %bb.20:                               ;   in Loop: Header=BB15_18 Depth=1
	v_alignbit_b32 v26, v25, v24, 1
	v_lshrrev_b32_e32 v29, 1, v25
	v_mul_lo_u32 v28, v26, s25
	v_mad_u64_u32 v[26:27], s[6:7], v26, s24, 0
	v_mul_lo_u32 v29, v29, s24
	v_add3_u32 v27, v27, v28, v29
	v_lshlrev_b64 v[26:27], 2, v[26:27]
	v_add_co_u32_e64 v26, s[6:7], v1, v26
	v_addc_co_u32_e64 v27, s[6:7], v36, v27, s[6:7]
	global_load_dword v26, v[26:27], off
	s_waitcnt vmcnt(0)
	v_ashrrev_i32_e32 v27, 31, v26
.LBB15_21:                              ;   in Loop: Header=BB15_18 Depth=1
	s_or_b64 exec, exec, s[10:11]
	v_cmp_lt_i64_e64 s[6:7], v[24:25], v[8:9]
	s_mov_b64 s[18:19], 0
	s_and_saveexec_b64 s[10:11], s[6:7]
	s_cbranch_execz .LBB15_25
; %bb.22:                               ;   in Loop: Header=BB15_18 Depth=1
	v_pk_mov_b32 v[28:29], s[34:35], s[34:35] op_sel:[0,1]
	s_and_saveexec_b64 s[6:7], vcc
	s_cbranch_execz .LBB15_24
; %bb.23:                               ;   in Loop: Header=BB15_18 Depth=1
	v_add_co_u32_e32 v28, vcc, 2, v24
	v_addc_co_u32_e32 v30, vcc, 0, v25, vcc
	v_alignbit_b32 v28, v30, v28, 1
	v_lshrrev_b32_e32 v30, 1, v30
	v_mul_lo_u32 v31, v28, s25
	v_mad_u64_u32 v[28:29], s[18:19], v28, s24, 0
	v_mul_lo_u32 v30, v30, s24
	v_add3_u32 v29, v29, v31, v30
	v_lshlrev_b64 v[28:29], 2, v[28:29]
	v_add_co_u32_e32 v28, vcc, v1, v28
	v_addc_co_u32_e32 v29, vcc, v36, v29, vcc
	global_load_dword v28, v[28:29], off
	s_waitcnt vmcnt(0)
	v_ashrrev_i32_e32 v29, 31, v28
.LBB15_24:                              ;   in Loop: Header=BB15_18 Depth=1
	s_or_b64 exec, exec, s[6:7]
	v_cmp_ne_u64_e32 vcc, v[28:29], v[26:27]
	s_and_b64 s[18:19], vcc, exec
.LBB15_25:                              ;   in Loop: Header=BB15_18 Depth=1
	s_or_b64 exec, exec, s[10:11]
	s_and_b64 s[10:11], s[18:19], exec
.LBB15_26:                              ;   in Loop: Header=BB15_18 Depth=1
	s_or_b64 exec, exec, s[8:9]
	s_andn2_b64 vcc, exec, s[16:17]
	s_cbranch_vccnz .LBB15_17
; %bb.27:                               ;   in Loop: Header=BB15_18 Depth=1
	v_cmp_gt_i64_e64 s[6:7], 1, v[24:25]
	v_cmp_lt_i64_e32 vcc, s[26:27], v[24:25]
	s_or_b64 s[18:19], s[2:3], s[6:7]
	v_cmp_lt_i64_e64 s[6:7], v[24:25], v[6:7]
	v_mad_u64_u32 v[24:25], s[8:9], s14, v26, v[16:17]
	v_mul_lo_u32 v27, s14, v27
	v_mul_lo_u32 v26, s15, v26
	v_add3_u32 v25, v26, v25, v27
	s_xor_b64 s[20:21], s[4:5], -1
	v_pk_mov_b32 v[26:27], v[22:23], v[22:23] op_sel:[0,1]
	v_pk_mov_b32 v[28:29], v[20:21], v[20:21] op_sel:[0,1]
	v_pk_mov_b32 v[30:31], v[18:19], v[18:19] op_sel:[0,1]
	v_pk_mov_b32 v[32:33], v[14:15], v[14:15] op_sel:[0,1]
	s_mov_b64 s[22:23], s[12:13]
	s_branch .LBB15_29
.LBB15_28:                              ;   in Loop: Header=BB15_29 Depth=2
	s_or_b64 exec, exec, s[30:31]
	v_mov_b32_e32 v34, s43
	v_add_co_u32_e64 v32, s[8:9], s42, v32
	v_addc_co_u32_e64 v33, s[8:9], v33, v34, s[8:9]
	v_mov_b32_e32 v34, s45
	v_add_co_u32_e64 v24, s[8:9], s44, v24
	v_addc_co_u32_e64 v25, s[8:9], v25, v34, s[8:9]
	;; [unrolled: 3-line block ×3, first 2 shown]
	v_add_co_u32_e64 v28, s[8:9], s42, v28
	s_add_u32 s22, s22, -1
	v_addc_co_u32_e64 v29, s[8:9], v29, v34, s[8:9]
	s_addc_u32 s23, s23, -1
	v_add_co_u32_e64 v26, s[8:9], s42, v26
	s_cmp_eq_u64 s[22:23], -1
	v_addc_co_u32_e64 v27, s[8:9], v27, v34, s[8:9]
	s_cbranch_scc1 .LBB15_17
.LBB15_29:                              ;   Parent Loop BB15_18 Depth=1
                                        ; =>  This Inner Loop Header: Depth=2
	v_cmp_ge_i64_e64 s[8:9], s[22:23], v[10:11]
	s_or_b64 s[30:31], s[20:21], s[8:9]
	s_mov_b64 s[28:29], 0
	s_barrier
	s_waitcnt lgkmcnt(0)
                                        ; implicit-def: $sgpr8
	s_and_saveexec_b64 s[36:37], s[30:31]
	s_xor_b64 s[30:31], exec, s[36:37]
	s_cbranch_execnz .LBB15_32
; %bb.30:                               ;   in Loop: Header=BB15_29 Depth=2
	s_or_saveexec_b64 s[30:31], s[30:31]
	v_mov_b32_e32 v34, s8
	s_xor_b64 exec, exec, s[30:31]
	s_cbranch_execnz .LBB15_33
.LBB15_31:                              ;   in Loop: Header=BB15_29 Depth=2
	s_or_b64 exec, exec, s[30:31]
	s_and_saveexec_b64 s[30:31], s[28:29]
	s_cbranch_execz .LBB15_28
	s_branch .LBB15_42
.LBB15_32:                              ;   in Loop: Header=BB15_29 Depth=2
	v_cmp_lt_i64_e64 s[8:9], s[22:23], v[2:3]
	s_and_b64 s[8:9], s[18:19], s[8:9]
	s_and_b64 s[8:9], s[8:9], s[4:5]
	s_or_b64 s[8:9], vcc, s[8:9]
	s_xor_b64 s[28:29], s[8:9], -1
	s_mov_b32 s8, 0xff800000
	s_and_b64 s[28:29], s[28:29], exec
	s_or_saveexec_b64 s[30:31], s[30:31]
	v_mov_b32_e32 v34, s8
	s_xor_b64 exec, exec, s[30:31]
	s_cbranch_execz .LBB15_31
.LBB15_33:                              ;   in Loop: Header=BB15_29 Depth=2
	v_add_co_u32_e64 v34, s[8:9], v28, v12
	v_addc_co_u32_e64 v35, s[8:9], v29, v13, s[8:9]
	global_load_dword v34, v[34:35], off
	v_mov_b32_e32 v40, 0xff800000
	v_mov_b32_e32 v35, 0xff800000
	s_waitcnt vmcnt(0)
	v_mov_b32_e32 v41, v34
	s_and_saveexec_b64 s[36:37], s[6:7]
	s_cbranch_execz .LBB15_37
; %bb.34:                               ;   in Loop: Header=BB15_29 Depth=2
	v_add_co_u32_e64 v42, s[8:9], v30, v12
	v_addc_co_u32_e64 v43, s[8:9], v31, v13, s[8:9]
	global_load_dword v35, v[42:43], off
	v_mov_b32_e32 v41, v34
	s_waitcnt vmcnt(0)
	v_cmp_gt_f32_e64 s[8:9], v35, v34
	s_and_saveexec_b64 s[38:39], s[8:9]
; %bb.35:                               ;   in Loop: Header=BB15_29 Depth=2
	v_mov_b32_e32 v41, v35
; %bb.36:                               ;   in Loop: Header=BB15_29 Depth=2
	s_or_b64 exec, exec, s[38:39]
.LBB15_37:                              ;   in Loop: Header=BB15_29 Depth=2
	s_or_b64 exec, exec, s[36:37]
	s_and_saveexec_b64 s[36:37], s[10:11]
	s_cbranch_execz .LBB15_41
; %bb.38:                               ;   in Loop: Header=BB15_29 Depth=2
	v_add_co_u32_e64 v42, s[8:9], v26, v12
	v_addc_co_u32_e64 v43, s[8:9], v27, v13, s[8:9]
	global_load_dword v40, v[42:43], off
	s_waitcnt vmcnt(0)
	v_cmp_gt_f32_e64 s[8:9], v40, v41
	s_and_saveexec_b64 s[38:39], s[8:9]
; %bb.39:                               ;   in Loop: Header=BB15_29 Depth=2
	v_mov_b32_e32 v41, v40
; %bb.40:                               ;   in Loop: Header=BB15_29 Depth=2
	s_or_b64 exec, exec, s[38:39]
.LBB15_41:                              ;   in Loop: Header=BB15_29 Depth=2
	s_or_b64 exec, exec, s[36:37]
	global_load_dword v43, v[24:25], off
	v_cmp_neq_f32_e64 s[8:9], s46, v41
	v_cndmask_b32_e64 v42, 0, v41, s[8:9]
	v_sub_f32_e32 v40, v40, v42
	v_mul_f32_e32 v45, 0x3fb8aa3b, v40
	v_fma_f32 v50, v40, s47, -v45
	v_rndne_f32_e32 v51, v45
	v_fmac_f32_e32 v50, 0x32a5705f, v40
	v_sub_f32_e32 v45, v45, v51
	v_add_f32_e32 v45, v45, v50
	v_cvt_i32_f32_e32 v51, v51
	v_exp_f32_e32 v45, v45
	s_or_b64 s[28:29], s[28:29], exec
	v_ldexp_f32 v45, v45, v51
	s_waitcnt vmcnt(0)
	v_pk_add_f32 v[34:35], v[34:35], v[42:43] op_sel_hi:[1,0] neg_lo:[0,1] neg_hi:[0,1]
	v_mul_f32_e32 v41, 0x3fb8aa3b, v35
	v_mul_f32_e32 v44, 0x3fb8aa3b, v34
	v_fma_f32 v46, v35, s47, -v41
	v_rndne_f32_e32 v47, v41
	v_fma_f32 v48, v34, s47, -v44
	v_rndne_f32_e32 v49, v44
	v_fmac_f32_e32 v46, 0x32a5705f, v35
	v_sub_f32_e32 v41, v41, v47
	v_fmac_f32_e32 v48, 0x32a5705f, v34
	v_sub_f32_e32 v44, v44, v49
	v_add_f32_e32 v41, v41, v46
	v_cvt_i32_f32_e32 v47, v47
	v_add_f32_e32 v44, v44, v48
	v_exp_f32_e32 v41, v41
	v_cvt_i32_f32_e32 v49, v49
	v_exp_f32_e32 v44, v44
	v_cmp_ngt_f32_e64 s[8:9], s48, v35
	v_ldexp_f32 v41, v41, v47
	v_cndmask_b32_e64 v41, 0, v41, s[8:9]
	v_ldexp_f32 v44, v44, v49
	v_cmp_ngt_f32_e64 s[8:9], s48, v34
	v_cndmask_b32_e64 v44, 0, v44, s[8:9]
	v_cmp_ngt_f32_e64 s[8:9], s48, v40
	v_cndmask_b32_e64 v45, 0, v45, s[8:9]
	v_cmp_nlt_f32_e64 s[8:9], s49, v35
	v_cndmask_b32_e64 v35, v37, v41, s[8:9]
	v_cmp_nlt_f32_e64 s[8:9], s49, v34
	;; [unrolled: 2-line block ×3, first 2 shown]
	v_cndmask_b32_e64 v40, v37, v45, s[8:9]
	v_add_f32_e32 v34, v34, v35
	v_add_f32_e32 v34, v40, v34
	v_cmp_gt_f32_e64 s[8:9], s51, v34
	v_cndmask_b32_e64 v35, 1.0, v38, s[8:9]
	v_mul_f32_e32 v34, v34, v35
	v_log_f32_e32 v34, v34
	v_cndmask_b32_e64 v35, 0, v39, s[8:9]
	v_mul_f32_e32 v40, 0x3f317217, v34
	v_fma_f32 v41, v34, s52, -v40
	v_fmac_f32_e32 v41, 0x3377d1cf, v34
	v_add_f32_e32 v40, v40, v41
	v_cmp_lt_f32_e64 s[8:9], |v34|, s50
	v_cndmask_b32_e64 v34, v34, v40, s[8:9]
	v_sub_f32_e32 v34, v34, v35
	v_add_f32_e32 v34, v42, v34
	v_add_f32_e32 v34, v43, v34
	s_or_b64 exec, exec, s[30:31]
	s_and_saveexec_b64 s[30:31], s[28:29]
	s_cbranch_execz .LBB15_28
.LBB15_42:                              ;   in Loop: Header=BB15_29 Depth=2
	v_add_co_u32_e64 v40, s[8:9], v32, v12
	v_addc_co_u32_e64 v41, s[8:9], v33, v13, s[8:9]
	global_store_dword v[40:41], v34, off
	s_branch .LBB15_28
.LBB15_43:
	s_endpgm
.LBB15_44:
                                        ; implicit-def: $vgpr20_vgpr21
	s_branch .LBB15_4
	.section	.rodata,"a",@progbits
	.p2align	6, 0x0
	.amdhsa_kernel _ZN2at6native12_GLOBAL__N_137ctc_loss_backward_log_beta_gpu_kernelIfiEEvPT_PKS3_PKllPKT0_S8_lllllllS8_lll
		.amdhsa_group_segment_fixed_size 0
		.amdhsa_private_segment_fixed_size 0
		.amdhsa_kernarg_size 392
		.amdhsa_user_sgpr_count 6
		.amdhsa_user_sgpr_private_segment_buffer 1
		.amdhsa_user_sgpr_dispatch_ptr 0
		.amdhsa_user_sgpr_queue_ptr 0
		.amdhsa_user_sgpr_kernarg_segment_ptr 1
		.amdhsa_user_sgpr_dispatch_id 0
		.amdhsa_user_sgpr_flat_scratch_init 0
		.amdhsa_user_sgpr_kernarg_preload_length 0
		.amdhsa_user_sgpr_kernarg_preload_offset 0
		.amdhsa_user_sgpr_private_segment_size 0
		.amdhsa_uses_dynamic_stack 0
		.amdhsa_system_sgpr_private_segment_wavefront_offset 0
		.amdhsa_system_sgpr_workgroup_id_x 1
		.amdhsa_system_sgpr_workgroup_id_y 1
		.amdhsa_system_sgpr_workgroup_id_z 0
		.amdhsa_system_sgpr_workgroup_info 0
		.amdhsa_system_vgpr_workitem_id 1
		.amdhsa_next_free_vgpr 52
		.amdhsa_next_free_sgpr 53
		.amdhsa_accum_offset 52
		.amdhsa_reserve_vcc 1
		.amdhsa_reserve_flat_scratch 0
		.amdhsa_float_round_mode_32 0
		.amdhsa_float_round_mode_16_64 0
		.amdhsa_float_denorm_mode_32 3
		.amdhsa_float_denorm_mode_16_64 3
		.amdhsa_dx10_clamp 1
		.amdhsa_ieee_mode 1
		.amdhsa_fp16_overflow 0
		.amdhsa_tg_split 0
		.amdhsa_exception_fp_ieee_invalid_op 0
		.amdhsa_exception_fp_denorm_src 0
		.amdhsa_exception_fp_ieee_div_zero 0
		.amdhsa_exception_fp_ieee_overflow 0
		.amdhsa_exception_fp_ieee_underflow 0
		.amdhsa_exception_fp_ieee_inexact 0
		.amdhsa_exception_int_div_zero 0
	.end_amdhsa_kernel
	.section	.text._ZN2at6native12_GLOBAL__N_137ctc_loss_backward_log_beta_gpu_kernelIfiEEvPT_PKS3_PKllPKT0_S8_lllllllS8_lll,"axG",@progbits,_ZN2at6native12_GLOBAL__N_137ctc_loss_backward_log_beta_gpu_kernelIfiEEvPT_PKS3_PKllPKT0_S8_lllllllS8_lll,comdat
.Lfunc_end15:
	.size	_ZN2at6native12_GLOBAL__N_137ctc_loss_backward_log_beta_gpu_kernelIfiEEvPT_PKS3_PKllPKT0_S8_lllllllS8_lll, .Lfunc_end15-_ZN2at6native12_GLOBAL__N_137ctc_loss_backward_log_beta_gpu_kernelIfiEEvPT_PKS3_PKllPKT0_S8_lllllllS8_lll
                                        ; -- End function
	.section	.AMDGPU.csdata,"",@progbits
; Kernel info:
; codeLenInByte = 3268
; NumSgprs: 57
; NumVgprs: 52
; NumAgprs: 0
; TotalNumVgprs: 52
; ScratchSize: 0
; MemoryBound: 0
; FloatMode: 240
; IeeeMode: 1
; LDSByteSize: 0 bytes/workgroup (compile time only)
; SGPRBlocks: 7
; VGPRBlocks: 6
; NumSGPRsForWavesPerEU: 57
; NumVGPRsForWavesPerEU: 52
; AccumOffset: 52
; Occupancy: 8
; WaveLimiterHint : 1
; COMPUTE_PGM_RSRC2:SCRATCH_EN: 0
; COMPUTE_PGM_RSRC2:USER_SGPR: 6
; COMPUTE_PGM_RSRC2:TRAP_HANDLER: 0
; COMPUTE_PGM_RSRC2:TGID_X_EN: 1
; COMPUTE_PGM_RSRC2:TGID_Y_EN: 1
; COMPUTE_PGM_RSRC2:TGID_Z_EN: 0
; COMPUTE_PGM_RSRC2:TIDIG_COMP_CNT: 1
; COMPUTE_PGM_RSRC3_GFX90A:ACCUM_OFFSET: 12
; COMPUTE_PGM_RSRC3_GFX90A:TG_SPLIT: 0
	.section	.text._ZN2at6native12_GLOBAL__N_145ctc_loss_backward_collect_nonblank_gpu_kernelIfiEEvPT_PKS3_lS6_S6_S6_PKlPKT0_S8_S6_llllllllllllS8_llb,"axG",@progbits,_ZN2at6native12_GLOBAL__N_145ctc_loss_backward_collect_nonblank_gpu_kernelIfiEEvPT_PKS3_lS6_S6_S6_PKlPKT0_S8_S6_llllllllllllS8_llb,comdat
	.globl	_ZN2at6native12_GLOBAL__N_145ctc_loss_backward_collect_nonblank_gpu_kernelIfiEEvPT_PKS3_lS6_S6_S6_PKlPKT0_S8_S6_llllllllllllS8_llb ; -- Begin function _ZN2at6native12_GLOBAL__N_145ctc_loss_backward_collect_nonblank_gpu_kernelIfiEEvPT_PKS3_lS6_S6_S6_PKlPKT0_S8_S6_llllllllllllS8_llb
	.p2align	8
	.type	_ZN2at6native12_GLOBAL__N_145ctc_loss_backward_collect_nonblank_gpu_kernelIfiEEvPT_PKS3_lS6_S6_S6_PKlPKT0_S8_S6_llllllllllllS8_llb,@function
_ZN2at6native12_GLOBAL__N_145ctc_loss_backward_collect_nonblank_gpu_kernelIfiEEvPT_PKS3_lS6_S6_S6_PKlPKT0_S8_S6_llllllllllllS8_llb: ; @_ZN2at6native12_GLOBAL__N_145ctc_loss_backward_collect_nonblank_gpu_kernelIfiEEvPT_PKS3_lS6_S6_S6_PKlPKT0_S8_S6_llllllllllllS8_llb
; %bb.0:
	s_load_dword s8, s[4:5], 0xdc
	s_load_dwordx4 s[0:3], s[4:5], 0xb8
	v_bfe_u32 v1, v0, 10, 10
	v_mov_b32_e32 v3, 0
	s_waitcnt lgkmcnt(0)
	s_lshr_b32 s9, s8, 16
	s_mul_i32 s7, s7, s9
	v_add_u32_e32 v2, s7, v1
	v_cmp_gt_i64_e32 vcc, s[2:3], v[2:3]
	s_and_saveexec_b64 s[2:3], vcc
	s_cbranch_execz .LBB16_5
; %bb.1:
	s_load_dwordx2 s[2:3], s[4:5], 0x40
	v_lshlrev_b64 v[6:7], 3, v[2:3]
	v_and_b32_e32 v0, 0x3ff, v0
	s_waitcnt lgkmcnt(0)
	v_mov_b32_e32 v1, s3
	v_add_co_u32_e32 v4, vcc, s2, v6
	v_addc_co_u32_e32 v5, vcc, v1, v7, vcc
	global_load_dwordx2 v[8:9], v[4:5], off
	v_mov_b32_e32 v1, v3
	s_and_b32 s2, s8, 0xffff
	v_mov_b32_e32 v4, s6
	v_mad_u64_u32 v[4:5], s[2:3], s2, v4, v[0:1]
	s_waitcnt vmcnt(0)
	v_cmp_lt_i64_e32 vcc, v[4:5], v[8:9]
	s_and_b64 exec, exec, vcc
	s_cbranch_execz .LBB16_5
; %bb.2:
	s_load_dword s8, s[4:5], 0xc8
	s_load_dwordx2 s[2:3], s[4:5], 0x30
	s_load_dwordx2 s[6:7], s[4:5], 0x48
	v_lshlrev_b64 v[0:1], 2, v[2:3]
	s_mov_b32 s9, 0x7f800000
	s_waitcnt lgkmcnt(0)
	s_bitcmp1_b32 s8, 0
	v_mov_b32_e32 v3, s3
	v_mov_b32_e32 v8, s7
	v_add_co_u32_e32 v0, vcc, s6, v0
	v_addc_co_u32_e32 v1, vcc, v8, v1, vcc
	global_load_dword v10, v[0:1], off
	v_add_co_u32_e32 v0, vcc, s2, v6
	v_addc_co_u32_e32 v1, vcc, v3, v7, vcc
	global_load_dwordx2 v[0:1], v[0:1], off
	s_cselect_b64 s[2:3], -1, 0
	s_xor_b64 s[2:3], s[2:3], -1
	s_mov_b64 s[6:7], 0
	s_waitcnt vmcnt(1)
	v_cmp_neq_f32_e32 vcc, s9, v10
	s_or_b64 s[2:3], s[2:3], vcc
	s_waitcnt vmcnt(0)
	v_cmp_lt_i64_e32 vcc, 0, v[0:1]
	s_and_b64 s[2:3], s[2:3], vcc
	s_and_b64 exec, exec, s[2:3]
	s_cbranch_execz .LBB16_5
; %bb.3:
	s_load_dwordx2 s[2:3], s[4:5], 0xb0
	v_mul_lo_u32 v11, v4, s1
	s_mov_b32 s33, 0x3fb8aa3b
	s_mov_b32 s34, 0xc2ce8ed0
	;; [unrolled: 1-line block ×3, first 2 shown]
	s_waitcnt lgkmcnt(0)
	v_mov_b32_e32 v3, s3
	v_add_co_u32_e32 v6, vcc, s2, v6
	v_addc_co_u32_e32 v7, vcc, v3, v7, vcc
	global_load_dwordx2 v[6:7], v[6:7], off
	s_load_dwordx8 s[24:31], s[4:5], 0x0
	s_load_dwordx4 s[44:47], s[4:5], 0x20
	s_load_dwordx2 s[2:3], s[4:5], 0x38
	s_load_dwordx16 s[8:23], s[4:5], 0x50
	s_load_dwordx8 s[36:43], s[4:5], 0x90
	v_mul_lo_u32 v3, v5, s0
	v_mad_u64_u32 v[8:9], s[0:1], v4, s0, 0
	v_lshlrev_b64 v[4:5], 1, v[4:5]
	v_add3_u32 v9, v9, v11, v3
	v_or_b32_e32 v3, 1, v4
	s_waitcnt lgkmcnt(0)
	v_mov_b32_e32 v4, s3
	v_lshlrev_b64 v[8:9], 2, v[8:9]
	v_mad_u64_u32 v[12:13], s[0:1], v2, s28, 0
	v_mov_b32_e32 v11, s27
	v_mad_u64_u32 v[14:15], s[0:1], v2, s10, 0
	v_mad_u64_u32 v[16:17], s[0:1], v2, s38, 0
	v_mul_lo_u32 v23, v5, s36
	v_mul_lo_u32 v28, v3, s37
	v_mad_u64_u32 v[18:19], s[0:1], v3, s36, 0
	v_mov_b32_e32 v24, v17
	v_add3_u32 v19, v19, v28, v23
	v_mov_b32_e32 v26, s47
	v_mov_b32_e32 v27, s25
	;; [unrolled: 1-line block ×4, first 2 shown]
	v_lshlrev_b64 v[18:19], 2, v[18:19]
	s_lshl_b64 s[4:5], s[40:41], 2
	s_lshl_b64 s[22:23], s[22:23], 2
	;; [unrolled: 1-line block ×4, first 2 shown]
	s_waitcnt vmcnt(0)
	v_lshlrev_b64 v[6:7], 2, v[6:7]
	v_add_co_u32_e32 v6, vcc, s2, v6
	v_addc_co_u32_e32 v4, vcc, v4, v7, vcc
	v_add_co_u32_e32 v6, vcc, v6, v8
	v_addc_co_u32_e32 v7, vcc, v4, v9, vcc
	global_load_dword v25, v[6:7], off
	v_mov_b32_e32 v4, v13
	v_mad_u64_u32 v[20:21], s[0:1], v2, s29, v[4:5]
	v_mov_b32_e32 v13, v20
	v_lshlrev_b64 v[12:13], 2, v[12:13]
	v_add_co_u32_e32 v12, vcc, s26, v12
	v_addc_co_u32_e32 v13, vcc, v11, v13, vcc
	global_load_dword v11, v[12:13], off
	v_mad_u64_u32 v[6:7], s[0:1], v2, s16, 0
	v_mad_u64_u32 v[8:9], s[0:1], v2, s20, 0
	v_mul_lo_u32 v13, v5, s42
	v_mul_lo_u32 v21, v3, s43
	v_mad_u64_u32 v[4:5], s[0:1], v3, s42, 0
	v_mov_b32_e32 v20, v7
	v_mov_b32_e32 v12, v15
	;; [unrolled: 1-line block ×3, first 2 shown]
	v_add3_u32 v5, v5, v21, v13
	v_mad_u64_u32 v[20:21], s[0:1], v2, s17, v[20:21]
	v_mad_u64_u32 v[12:13], s[0:1], v2, s11, v[12:13]
	;; [unrolled: 1-line block ×3, first 2 shown]
	v_mov_b32_e32 v7, v20
	v_mov_b32_e32 v15, v12
	;; [unrolled: 1-line block ×3, first 2 shown]
	v_lshlrev_b64 v[8:9], 2, v[8:9]
	v_lshlrev_b64 v[4:5], 2, v[4:5]
	s_waitcnt vmcnt(1)
	v_mad_u64_u32 v[2:3], s[0:1], v2, s39, v[24:25]
	v_mov_b32_e32 v17, v2
	v_lshlrev_b64 v[2:3], 2, v[6:7]
	v_lshlrev_b64 v[6:7], 2, v[14:15]
	v_add_co_u32_e32 v14, vcc, s46, v2
	v_addc_co_u32_e32 v15, vcc, v26, v3, vcc
	v_lshlrev_b64 v[12:13], 2, v[16:17]
	v_add_co_u32_e32 v16, vcc, s24, v6
	v_addc_co_u32_e32 v17, vcc, v27, v7, vcc
	v_add_co_u32_e32 v2, vcc, s30, v8
	v_addc_co_u32_e32 v3, vcc, v29, v9, vcc
	;; [unrolled: 2-line block ×4, first 2 shown]
	v_add_co_u32_e32 v4, vcc, v6, v4
	v_ashrrev_i32_e32 v12, 31, v25
	v_addc_co_u32_e32 v5, vcc, v7, v5, vcc
	v_mul_lo_u32 v13, v25, s19
	v_mad_u64_u32 v[6:7], s[0:1], v25, s18, 0
	v_mul_lo_u32 v19, v12, s18
	v_add3_u32 v7, v7, v13, v19
	v_mul_lo_u32 v18, v25, s13
	v_mad_u64_u32 v[8:9], s[0:1], v25, s12, 0
	v_mul_lo_u32 v12, v12, s12
	v_lshlrev_b64 v[6:7], 2, v[6:7]
	v_add3_u32 v9, v9, v18, v12
	v_add_co_u32_e32 v6, vcc, v14, v6
	v_lshlrev_b64 v[8:9], 2, v[8:9]
	v_addc_co_u32_e32 v7, vcc, v15, v7, vcc
	v_add_co_u32_e32 v8, vcc, v16, v8
	v_addc_co_u32_e32 v9, vcc, v17, v9, vcc
	v_mov_b32_e32 v12, 0x7f800000
.LBB16_4:                               ; =>This Inner Loop Header: Depth=1
	global_load_dword v13, v[2:3], off
	global_load_dword v14, v[4:5], off
	;; [unrolled: 1-line block ×3, first 2 shown]
	v_add_co_u32_e64 v6, s[0:1], s14, v6
	v_add_co_u32_e64 v4, s[2:3], s4, v4
	s_waitcnt vmcnt(1)
	v_add_f32_e32 v13, v13, v14
	v_add_f32_e32 v13, v10, v13
	s_waitcnt vmcnt(0)
	v_sub_f32_e32 v13, v13, v15
	v_mul_f32_e32 v14, 0x3fb8aa3b, v13
	v_fma_f32 v15, v13, s33, -v14
	v_rndne_f32_e32 v16, v14
	v_fmac_f32_e32 v15, 0x32a5705f, v13
	v_sub_f32_e32 v14, v14, v16
	v_add_f32_e32 v14, v14, v15
	v_cvt_i32_f32_e32 v16, v16
	v_exp_f32_e32 v14, v14
	v_cmp_ngt_f32_e32 vcc, s34, v13
	v_mov_b32_e32 v15, s9
	v_ldexp_f32 v14, v14, v16
	v_cndmask_b32_e32 v14, 0, v14, vcc
	v_cmp_nlt_f32_e32 vcc, s35, v13
	v_cndmask_b32_e32 v13, v12, v14, vcc
	v_mul_f32_e64 v13, v11, -v13
	global_atomic_add_f32 v[8:9], v13, off
	v_add_co_u32_e32 v0, vcc, -1, v0
	v_addc_co_u32_e32 v1, vcc, -1, v1, vcc
	v_mov_b32_e32 v14, s23
	v_add_co_u32_e32 v2, vcc, s22, v2
	v_mov_b32_e32 v16, s15
	v_addc_co_u32_e32 v3, vcc, v3, v14, vcc
	v_addc_co_u32_e64 v7, vcc, v7, v16, s[0:1]
	v_cmp_eq_u64_e32 vcc, 0, v[0:1]
	v_mov_b32_e32 v13, s5
	s_or_b64 s[6:7], vcc, s[6:7]
	v_add_co_u32_e32 v8, vcc, s8, v8
	v_addc_co_u32_e64 v5, s[2:3], v5, v13, s[2:3]
	v_addc_co_u32_e32 v9, vcc, v9, v15, vcc
	s_andn2_b64 exec, exec, s[6:7]
	s_cbranch_execnz .LBB16_4
.LBB16_5:
	s_endpgm
	.section	.rodata,"a",@progbits
	.p2align	6, 0x0
	.amdhsa_kernel _ZN2at6native12_GLOBAL__N_145ctc_loss_backward_collect_nonblank_gpu_kernelIfiEEvPT_PKS3_lS6_S6_S6_PKlPKT0_S8_S6_llllllllllllS8_llb
		.amdhsa_group_segment_fixed_size 0
		.amdhsa_private_segment_fixed_size 0
		.amdhsa_kernarg_size 464
		.amdhsa_user_sgpr_count 6
		.amdhsa_user_sgpr_private_segment_buffer 1
		.amdhsa_user_sgpr_dispatch_ptr 0
		.amdhsa_user_sgpr_queue_ptr 0
		.amdhsa_user_sgpr_kernarg_segment_ptr 1
		.amdhsa_user_sgpr_dispatch_id 0
		.amdhsa_user_sgpr_flat_scratch_init 0
		.amdhsa_user_sgpr_kernarg_preload_length 0
		.amdhsa_user_sgpr_kernarg_preload_offset 0
		.amdhsa_user_sgpr_private_segment_size 0
		.amdhsa_uses_dynamic_stack 0
		.amdhsa_system_sgpr_private_segment_wavefront_offset 0
		.amdhsa_system_sgpr_workgroup_id_x 1
		.amdhsa_system_sgpr_workgroup_id_y 1
		.amdhsa_system_sgpr_workgroup_id_z 0
		.amdhsa_system_sgpr_workgroup_info 0
		.amdhsa_system_vgpr_workitem_id 1
		.amdhsa_next_free_vgpr 31
		.amdhsa_next_free_sgpr 48
		.amdhsa_accum_offset 32
		.amdhsa_reserve_vcc 1
		.amdhsa_reserve_flat_scratch 0
		.amdhsa_float_round_mode_32 0
		.amdhsa_float_round_mode_16_64 0
		.amdhsa_float_denorm_mode_32 3
		.amdhsa_float_denorm_mode_16_64 3
		.amdhsa_dx10_clamp 1
		.amdhsa_ieee_mode 1
		.amdhsa_fp16_overflow 0
		.amdhsa_tg_split 0
		.amdhsa_exception_fp_ieee_invalid_op 0
		.amdhsa_exception_fp_denorm_src 0
		.amdhsa_exception_fp_ieee_div_zero 0
		.amdhsa_exception_fp_ieee_overflow 0
		.amdhsa_exception_fp_ieee_underflow 0
		.amdhsa_exception_fp_ieee_inexact 0
		.amdhsa_exception_int_div_zero 0
	.end_amdhsa_kernel
	.section	.text._ZN2at6native12_GLOBAL__N_145ctc_loss_backward_collect_nonblank_gpu_kernelIfiEEvPT_PKS3_lS6_S6_S6_PKlPKT0_S8_S6_llllllllllllS8_llb,"axG",@progbits,_ZN2at6native12_GLOBAL__N_145ctc_loss_backward_collect_nonblank_gpu_kernelIfiEEvPT_PKS3_lS6_S6_S6_PKlPKT0_S8_S6_llllllllllllS8_llb,comdat
.Lfunc_end16:
	.size	_ZN2at6native12_GLOBAL__N_145ctc_loss_backward_collect_nonblank_gpu_kernelIfiEEvPT_PKS3_lS6_S6_S6_PKlPKT0_S8_S6_llllllllllllS8_llb, .Lfunc_end16-_ZN2at6native12_GLOBAL__N_145ctc_loss_backward_collect_nonblank_gpu_kernelIfiEEvPT_PKS3_lS6_S6_S6_PKlPKT0_S8_S6_llllllllllllS8_llb
                                        ; -- End function
	.section	.AMDGPU.csdata,"",@progbits
; Kernel info:
; codeLenInByte = 1140
; NumSgprs: 52
; NumVgprs: 31
; NumAgprs: 0
; TotalNumVgprs: 31
; ScratchSize: 0
; MemoryBound: 0
; FloatMode: 240
; IeeeMode: 1
; LDSByteSize: 0 bytes/workgroup (compile time only)
; SGPRBlocks: 6
; VGPRBlocks: 3
; NumSGPRsForWavesPerEU: 52
; NumVGPRsForWavesPerEU: 31
; AccumOffset: 32
; Occupancy: 8
; WaveLimiterHint : 1
; COMPUTE_PGM_RSRC2:SCRATCH_EN: 0
; COMPUTE_PGM_RSRC2:USER_SGPR: 6
; COMPUTE_PGM_RSRC2:TRAP_HANDLER: 0
; COMPUTE_PGM_RSRC2:TGID_X_EN: 1
; COMPUTE_PGM_RSRC2:TGID_Y_EN: 1
; COMPUTE_PGM_RSRC2:TGID_Z_EN: 0
; COMPUTE_PGM_RSRC2:TIDIG_COMP_CNT: 1
; COMPUTE_PGM_RSRC3_GFX90A:ACCUM_OFFSET: 7
; COMPUTE_PGM_RSRC3_GFX90A:TG_SPLIT: 0
	.section	.text._ZN2at6native12_GLOBAL__N_136ctc_loss_backward_collect_gpu_kernelIfiEEvPT_PKS3_lS6_S6_S6_PKllPKT0_S8_lS6_llllllllllllS8_llllb,"axG",@progbits,_ZN2at6native12_GLOBAL__N_136ctc_loss_backward_collect_gpu_kernelIfiEEvPT_PKS3_lS6_S6_S6_PKllPKT0_S8_lS6_llllllllllllS8_llllb,comdat
	.globl	_ZN2at6native12_GLOBAL__N_136ctc_loss_backward_collect_gpu_kernelIfiEEvPT_PKS3_lS6_S6_S6_PKllPKT0_S8_lS6_llllllllllllS8_llllb ; -- Begin function _ZN2at6native12_GLOBAL__N_136ctc_loss_backward_collect_gpu_kernelIfiEEvPT_PKS3_lS6_S6_S6_PKllPKT0_S8_lS6_llllllllllllS8_llllb
	.p2align	8
	.type	_ZN2at6native12_GLOBAL__N_136ctc_loss_backward_collect_gpu_kernelIfiEEvPT_PKS3_lS6_S6_S6_PKllPKT0_S8_lS6_llllllllllllS8_llllb,@function
_ZN2at6native12_GLOBAL__N_136ctc_loss_backward_collect_gpu_kernelIfiEEvPT_PKS3_lS6_S6_S6_PKllPKT0_S8_lS6_llllllllllllS8_llllb: ; @_ZN2at6native12_GLOBAL__N_136ctc_loss_backward_collect_gpu_kernelIfiEEvPT_PKS3_lS6_S6_S6_PKllPKT0_S8_lS6_llllllllllllS8_llllb
; %bb.0:
	s_load_dword s2, s[4:5], 0xfc
	s_load_dwordx2 s[0:1], s[4:5], 0x38
	s_load_dwordx8 s[24:31], s[4:5], 0xc8
	v_bfe_u32 v1, v0, 10, 10
	v_mov_b32_e32 v3, 0
	s_waitcnt lgkmcnt(0)
	s_lshr_b32 s3, s2, 16
	s_mul_i32 s7, s7, s3
	v_add_u32_e32 v2, s7, v1
	v_and_b32_e32 v0, 0x3ff, v0
	v_mov_b32_e32 v1, v3
	s_and_b32 s2, s2, 0xffff
	v_mov_b32_e32 v4, s6
	v_mad_u64_u32 v[0:1], s[2:3], s2, v4, v[0:1]
	v_cmp_gt_i64_e32 vcc, s[0:1], v[0:1]
	v_cmp_gt_i64_e64 s[0:1], s[26:27], v[2:3]
	s_and_b64 s[0:1], vcc, s[0:1]
	s_and_saveexec_b64 s[2:3], s[0:1]
	s_cbranch_execz .LBB17_15
; %bb.1:
	s_load_dwordx2 s[0:1], s[4:5], 0x30
	s_load_dwordx2 s[26:27], s[4:5], 0x50
	v_lshlrev_b64 v[8:9], 3, v[2:3]
	s_waitcnt lgkmcnt(0)
	v_mov_b32_e32 v5, s1
	v_add_co_u32_e32 v4, vcc, s0, v8
	v_addc_co_u32_e32 v5, vcc, v5, v9, vcc
	global_load_dwordx2 v[6:7], v[4:5], off
	s_load_dwordx16 s[8:23], s[4:5], 0x60
	s_load_dwordx2 s[6:7], s[4:5], 0x0
	s_waitcnt lgkmcnt(0)
	v_mad_u64_u32 v[4:5], s[0:1], v2, s10, 0
	v_mov_b32_e32 v10, v5
	v_mad_u64_u32 v[10:11], s[0:1], v2, s11, v[10:11]
	v_mov_b32_e32 v5, v10
	v_cmp_lt_i64_e64 s[0:1], s[26:27], 0
	s_mov_b64 s[10:11], 0
	s_and_b64 vcc, exec, s[0:1]
	v_mul_lo_u32 v18, v1, s8
	v_mul_lo_u32 v19, v0, s9
	v_lshlrev_b64 v[4:5], 2, v[4:5]
	s_cbranch_vccnz .LBB17_10
; %bb.2:
	s_load_dwordx2 s[34:35], s[4:5], 0xc0
	s_load_dwordx4 s[0:3], s[4:5], 0x40
	s_load_dwordx4 s[44:47], s[4:5], 0x18
	s_load_dwordx8 s[36:43], s[4:5], 0xa0
	v_mul_lo_u32 v21, v1, s22
	s_waitcnt lgkmcnt(0)
	v_mov_b32_e32 v11, s35
	v_add_co_u32_e32 v10, vcc, s34, v8
	v_addc_co_u32_e32 v11, vcc, v11, v9, vcc
	global_load_dwordx2 v[12:13], v[10:11], off
	v_mov_b32_e32 v10, s3
	v_add_co_u32_e32 v8, vcc, s2, v8
	v_addc_co_u32_e32 v9, vcc, v10, v9, vcc
	global_load_dwordx2 v[14:15], v[8:9], off
	s_lshl_b64 s[2:3], s[26:27], 1
	v_mad_u64_u32 v[8:9], s[26:27], v2, s20, 0
	v_mul_lo_u32 v22, v0, s23
	v_mad_u64_u32 v[10:11], s[22:23], v0, s22, 0
	v_mad_u64_u32 v[16:17], s[22:23], v0, s8, 0
	v_mov_b32_e32 v23, s7
	v_mov_b32_e32 v20, v9
	v_add3_u32 v11, v11, v22, v21
	v_add3_u32 v17, v17, v19, v18
	v_add_co_u32_e32 v22, vcc, s6, v4
	v_addc_co_u32_e32 v23, vcc, v23, v5, vcc
	v_mad_u64_u32 v[20:21], s[20:21], v2, s21, v[20:21]
	v_lshlrev_b64 v[16:17], 2, v[16:17]
	v_mov_b32_e32 v9, v20
	v_add_co_u32_e32 v20, vcc, v22, v16
	v_addc_co_u32_e32 v21, vcc, v23, v17, vcc
	v_lshlrev_b64 v[8:9], 2, v[8:9]
	v_mad_u64_u32 v[16:17], s[20:21], v2, s38, 0
	v_mov_b32_e32 v25, s45
	v_mov_b32_e32 v24, v17
	v_add_co_u32_e32 v8, vcc, s44, v8
	v_lshlrev_b64 v[10:11], 2, v[10:11]
	v_addc_co_u32_e32 v9, vcc, v25, v9, vcc
	v_mad_u64_u32 v[24:25], s[34:35], v2, s39, v[24:25]
	v_add_co_u32_e32 v8, vcc, v8, v10
	v_mov_b32_e32 v17, v24
	v_mul_lo_u32 v27, v1, s40
	v_mul_lo_u32 v28, v0, s41
	v_mad_u64_u32 v[22:23], s[20:21], v0, s40, 0
	v_addc_co_u32_e32 v9, vcc, v9, v11, vcc
	v_lshlrev_b64 v[16:17], 2, v[16:17]
	v_mov_b32_e32 v29, s47
	v_add3_u32 v23, v23, v28, v27
	v_add_co_u32_e32 v16, vcc, s46, v16
	v_lshlrev_b64 v[10:11], 2, v[22:23]
	v_addc_co_u32_e32 v17, vcc, v29, v17, vcc
	v_add_co_u32_e32 v10, vcc, v16, v10
	v_addc_co_u32_e32 v11, vcc, v17, v11, vcc
	v_mov_b32_e32 v26, s1
	s_mov_b32 s23, 0
	s_mov_b32 s9, 0xff800000
	;; [unrolled: 1-line block ×6, first 2 shown]
	s_lshl_b64 s[20:21], s[36:37], 2
	s_lshl_b64 s[26:27], s[42:43], 2
	s_mov_b32 s38, 0x800000
	s_mov_b32 s39, 0x3f317217
	v_mov_b32_e32 v24, 0x7f800000
	v_mov_b32_e32 v25, 0x4f800000
	s_waitcnt vmcnt(1)
	v_lshlrev_b64 v[16:17], 2, v[12:13]
	v_add_co_u32_e32 v22, vcc, s0, v16
	v_addc_co_u32_e32 v23, vcc, v26, v17, vcc
	v_mov_b32_e32 v26, 0x41b17218
	s_waitcnt vmcnt(0)
	v_lshlrev_b64 v[12:13], 1, v[14:15]
	s_branch .LBB17_5
.LBB17_3:                               ;   in Loop: Header=BB17_5 Depth=1
	s_or_b64 exec, exec, s[36:37]
	global_store_dword v[14:15], v17, off
.LBB17_4:                               ;   in Loop: Header=BB17_5 Depth=1
	s_or_b64 exec, exec, s[34:35]
	v_mov_b32_e32 v14, s21
	v_add_co_u32_e32 v8, vcc, s20, v8
	s_add_u32 s10, s10, 1
	v_addc_co_u32_e32 v9, vcc, v9, v14, vcc
	s_addc_u32 s11, s11, 0
	v_mov_b32_e32 v14, s27
	v_add_co_u32_e32 v10, vcc, s26, v10
	v_addc_co_u32_e32 v11, vcc, v11, v14, vcc
	v_pk_mov_b32 v[14:15], s[10:11], s[10:11] op_sel:[0,1]
	v_cmp_lt_i64_e32 vcc, s[2:3], v[14:15]
	s_cbranch_vccnz .LBB17_10
.LBB17_5:                               ; =>This Inner Loop Header: Depth=1
	v_cmp_le_i64_e32 vcc, s[10:11], v[12:13]
	s_and_saveexec_b64 s[34:35], vcc
	s_cbranch_execz .LBB17_4
; %bb.6:                                ;   in Loop: Header=BB17_5 Depth=1
	s_and_b32 s22, s10, 1
	s_cmp_eq_u64 s[22:23], 0
	v_pk_mov_b32 v[14:15], s[30:31], s[30:31] op_sel:[0,1]
	s_cbranch_scc1 .LBB17_8
; %bb.7:                                ;   in Loop: Header=BB17_5 Depth=1
	v_mov_b32_e32 v14, s10
	v_alignbit_b32 v14, s11, v14, 1
	v_mul_lo_u32 v15, v14, s25
	v_mul_hi_u32 v16, v14, s24
	s_lshr_b32 s0, s11, 1
	v_add_u32_e32 v15, v16, v15
	s_mul_i32 s0, s0, s24
	v_add_u32_e32 v15, s0, v15
	v_mul_lo_u32 v14, v14, s24
	v_lshlrev_b64 v[14:15], 2, v[14:15]
	v_add_co_u32_e32 v14, vcc, v22, v14
	v_addc_co_u32_e32 v15, vcc, v23, v15, vcc
	global_load_dword v14, v[14:15], off
	s_waitcnt vmcnt(0)
	v_ashrrev_i32_e32 v15, 31, v14
.LBB17_8:                               ;   in Loop: Header=BB17_5 Depth=1
	v_mul_lo_u32 v16, v15, s12
	v_mul_lo_u32 v28, v14, s13
	v_mad_u64_u32 v[14:15], s[0:1], v14, s12, 0
	v_add3_u32 v15, v15, v28, v16
	v_lshlrev_b64 v[14:15], 2, v[14:15]
	v_add_co_u32_e32 v14, vcc, v20, v14
	v_addc_co_u32_e32 v15, vcc, v21, v15, vcc
	global_load_dword v17, v[8:9], off
	global_load_dword v27, v[10:11], off
	;; [unrolled: 1-line block ×3, first 2 shown]
	s_waitcnt vmcnt(1)
	v_add_f32_e32 v17, v17, v27
	s_waitcnt vmcnt(0)
	v_cmp_neq_f32_e32 vcc, s9, v16
	s_and_saveexec_b64 s[36:37], vcc
	s_cbranch_execz .LBB17_3
; %bb.9:                                ;   in Loop: Header=BB17_5 Depth=1
	v_cmp_gt_f32_e32 vcc, v16, v17
	v_cndmask_b32_e32 v28, v17, v16, vcc
	v_pk_add_f32 v[16:17], v[16:17], v[28:29] op_sel_hi:[1,0] neg_lo:[0,1] neg_hi:[0,1]
	v_mul_f32_e32 v27, 0x3fb8aa3b, v17
	v_fma_f32 v29, v17, s33, -v27
	v_rndne_f32_e32 v30, v27
	v_fmac_f32_e32 v29, 0x32a5705f, v17
	v_sub_f32_e32 v27, v27, v30
	v_add_f32_e32 v27, v27, v29
	v_exp_f32_e32 v27, v27
	v_cvt_i32_f32_e32 v29, v30
	v_cmp_ngt_f32_e32 vcc, s48, v17
	v_ldexp_f32 v27, v27, v29
	v_mul_f32_e32 v29, 0x3fb8aa3b, v16
	v_fma_f32 v30, v16, s33, -v29
	v_rndne_f32_e32 v31, v29
	v_fmac_f32_e32 v30, 0x32a5705f, v16
	v_sub_f32_e32 v29, v29, v31
	v_add_f32_e32 v29, v29, v30
	v_exp_f32_e32 v29, v29
	v_cvt_i32_f32_e32 v30, v31
	v_cndmask_b32_e32 v27, 0, v27, vcc
	v_cmp_nlt_f32_e32 vcc, s49, v17
	v_cndmask_b32_e32 v17, v24, v27, vcc
	v_ldexp_f32 v27, v29, v30
	v_cmp_ngt_f32_e32 vcc, s48, v16
	v_cndmask_b32_e32 v27, 0, v27, vcc
	v_cmp_nlt_f32_e32 vcc, s49, v16
	v_cndmask_b32_e32 v16, v24, v27, vcc
	v_add_f32_e32 v16, v16, v17
	v_cmp_gt_f32_e32 vcc, s38, v16
	v_cndmask_b32_e32 v17, 1.0, v25, vcc
	v_mul_f32_e32 v16, v16, v17
	v_log_f32_e32 v16, v16
	v_mul_f32_e32 v17, 0x3f317217, v16
	v_fma_f32 v27, v16, s39, -v17
	v_fmac_f32_e32 v27, 0x3377d1cf, v16
	v_add_f32_e32 v17, v17, v27
	v_cmp_lt_f32_e64 s[0:1], |v16|, s50
	v_cndmask_b32_e64 v16, v16, v17, s[0:1]
	v_cndmask_b32_e32 v17, 0, v26, vcc
	v_sub_f32_e32 v16, v16, v17
	v_add_f32_e32 v17, v28, v16
	s_branch .LBB17_3
.LBB17_10:
	v_cmp_lt_i64_e64 s[0:1], s[28:29], 1
	s_and_b64 vcc, exec, s[0:1]
	s_cbranch_vccnz .LBB17_15
; %bb.11:
	s_load_dwordx2 s[0:1], s[4:5], 0x58
	s_load_dwordx4 s[20:23], s[4:5], 0x8
	s_load_dwordx2 s[2:3], s[4:5], 0x28
	v_lshlrev_b64 v[8:9], 2, v[2:3]
	v_mul_lo_u32 v14, v0, s15
	s_waitcnt lgkmcnt(0)
	v_mov_b32_e32 v3, s1
	v_add_co_u32_e32 v8, vcc, s0, v8
	v_mad_u64_u32 v[10:11], s[0:1], v2, s22, 0
	v_mov_b32_e32 v12, v11
	v_mad_u64_u32 v[12:13], s[0:1], v2, s23, v[12:13]
	v_addc_co_u32_e32 v9, vcc, v3, v9, vcc
	v_mov_b32_e32 v11, v12
	global_load_dword v8, v[8:9], off
	v_lshlrev_b64 v[10:11], 2, v[10:11]
	v_mov_b32_e32 v3, s21
	v_add_co_u32_e32 v10, vcc, s20, v10
	v_addc_co_u32_e32 v11, vcc, v3, v11, vcc
	global_load_dword v9, v[10:11], off
	v_mad_u64_u32 v[10:11], s[0:1], v2, s16, 0
	v_mad_u64_u32 v[12:13], s[0:1], v0, s8, 0
	s_waitcnt vmcnt(2)
	v_cmp_lt_i64_e32 vcc, v[0:1], v[6:7]
	v_mul_lo_u32 v7, v1, s14
	v_mad_u64_u32 v[0:1], s[0:1], v0, s14, 0
	v_mov_b32_e32 v3, s7
	v_mov_b32_e32 v6, v11
	v_add3_u32 v13, v13, v19, v18
	v_add_co_u32_e64 v15, s[0:1], s6, v4
	s_load_dword s4, s[4:5], 0xe8
	v_addc_co_u32_e64 v16, s[0:1], v3, v5, s[0:1]
	v_add3_u32 v1, v1, v14, v7
	v_mad_u64_u32 v[2:3], s[0:1], v2, s17, v[6:7]
	v_lshlrev_b64 v[4:5], 2, v[12:13]
	v_lshlrev_b64 v[6:7], 2, v[0:1]
	v_mov_b32_e32 v11, v2
	v_add_co_u32_e64 v0, s[0:1], v15, v4
	v_addc_co_u32_e64 v1, s[0:1], v16, v5, s[0:1]
	v_lshlrev_b64 v[2:3], 2, v[10:11]
	v_mov_b32_e32 v4, s3
	v_add_co_u32_e64 v2, s[0:1], s2, v2
	v_addc_co_u32_e64 v3, s[0:1], v4, v3, s[0:1]
	s_waitcnt lgkmcnt(0)
	s_bitcmp1_b32 s4, 0
	v_add_co_u32_e64 v2, s[0:1], v2, v6
	s_mov_b32 s11, 0x7f800000
	s_cselect_b64 s[6:7], -1, 0
	v_addc_co_u32_e64 v3, s[0:1], v3, v7, s[0:1]
	s_xor_b64 s[6:7], s[6:7], -1
	s_lshl_b64 s[2:3], s[18:19], 2
	s_lshl_b64 s[4:5], s[12:13], 2
	s_mov_b32 s8, 0x3fb8aa3b
	s_mov_b32 s9, 0xc2ce8ed0
	;; [unrolled: 1-line block ×3, first 2 shown]
	v_mov_b32_e32 v4, s3
	v_mov_b32_e32 v5, 0x7f800000
	;; [unrolled: 1-line block ×3, first 2 shown]
	s_waitcnt vmcnt(1)
	v_cmp_neq_f32_e64 s[0:1], s11, v8
	s_or_b64 s[0:1], s[6:7], s[0:1]
	s_and_b64 s[0:1], vcc, s[0:1]
	s_branch .LBB17_13
.LBB17_12:                              ;   in Loop: Header=BB17_13 Depth=1
	s_or_b64 exec, exec, s[6:7]
	v_add_co_u32_e32 v2, vcc, s2, v2
	s_add_u32 s28, s28, -1
	v_addc_co_u32_e32 v3, vcc, v3, v4, vcc
	global_store_dword v[0:1], v7, off
	s_addc_u32 s29, s29, -1
	v_add_co_u32_e32 v0, vcc, s4, v0
	s_cmp_lg_u64 s[28:29], 0
	v_addc_co_u32_e32 v1, vcc, v1, v6, vcc
	s_cbranch_scc0 .LBB17_15
.LBB17_13:                              ; =>This Inner Loop Header: Depth=1
	v_mov_b32_e32 v7, 0
	s_and_saveexec_b64 s[6:7], s[0:1]
	s_cbranch_execz .LBB17_12
; %bb.14:                               ;   in Loop: Header=BB17_13 Depth=1
	global_load_dword v7, v[2:3], off
	global_load_dword v10, v[0:1], off
	s_waitcnt vmcnt(1)
	v_mul_f32_e32 v11, 0x3fb8aa3b, v7
	s_waitcnt vmcnt(0)
	v_add_f32_e32 v10, v8, v10
	v_rndne_f32_e32 v12, v11
	v_fma_f32 v13, v7, s8, -v11
	v_sub_f32_e32 v10, v10, v7
	v_sub_f32_e32 v11, v11, v12
	v_fmac_f32_e32 v13, 0x32a5705f, v7
	v_mul_f32_e32 v14, 0x3fb8aa3b, v10
	v_add_f32_e32 v11, v11, v13
	v_fma_f32 v13, v10, s8, -v14
	v_rndne_f32_e32 v15, v14
	v_cvt_i32_f32_e32 v12, v12
	v_exp_f32_e32 v11, v11
	v_fmac_f32_e32 v13, 0x32a5705f, v10
	v_sub_f32_e32 v14, v14, v15
	v_add_f32_e32 v13, v14, v13
	v_cvt_i32_f32_e32 v15, v15
	v_exp_f32_e32 v13, v13
	v_ldexp_f32 v11, v11, v12
	v_cmp_ngt_f32_e32 vcc, s9, v7
	v_cndmask_b32_e32 v11, 0, v11, vcc
	v_cmp_nlt_f32_e32 vcc, s10, v7
	v_cndmask_b32_e32 v7, v5, v11, vcc
	v_ldexp_f32 v11, v13, v15
	v_cmp_ngt_f32_e32 vcc, s9, v10
	v_cndmask_b32_e32 v11, 0, v11, vcc
	v_cmp_nlt_f32_e32 vcc, s10, v10
	v_cndmask_b32_e32 v10, v5, v11, vcc
	v_sub_f32_e32 v7, v7, v10
	v_mul_f32_e32 v7, v9, v7
	s_branch .LBB17_12
.LBB17_15:
	s_endpgm
	.section	.rodata,"a",@progbits
	.p2align	6, 0x0
	.amdhsa_kernel _ZN2at6native12_GLOBAL__N_136ctc_loss_backward_collect_gpu_kernelIfiEEvPT_PKS3_lS6_S6_S6_PKllPKT0_S8_lS6_llllllllllllS8_llllb
		.amdhsa_group_segment_fixed_size 0
		.amdhsa_private_segment_fixed_size 0
		.amdhsa_kernarg_size 496
		.amdhsa_user_sgpr_count 6
		.amdhsa_user_sgpr_private_segment_buffer 1
		.amdhsa_user_sgpr_dispatch_ptr 0
		.amdhsa_user_sgpr_queue_ptr 0
		.amdhsa_user_sgpr_kernarg_segment_ptr 1
		.amdhsa_user_sgpr_dispatch_id 0
		.amdhsa_user_sgpr_flat_scratch_init 0
		.amdhsa_user_sgpr_kernarg_preload_length 0
		.amdhsa_user_sgpr_kernarg_preload_offset 0
		.amdhsa_user_sgpr_private_segment_size 0
		.amdhsa_uses_dynamic_stack 0
		.amdhsa_system_sgpr_private_segment_wavefront_offset 0
		.amdhsa_system_sgpr_workgroup_id_x 1
		.amdhsa_system_sgpr_workgroup_id_y 1
		.amdhsa_system_sgpr_workgroup_id_z 0
		.amdhsa_system_sgpr_workgroup_info 0
		.amdhsa_system_vgpr_workitem_id 1
		.amdhsa_next_free_vgpr 32
		.amdhsa_next_free_sgpr 51
		.amdhsa_accum_offset 32
		.amdhsa_reserve_vcc 1
		.amdhsa_reserve_flat_scratch 0
		.amdhsa_float_round_mode_32 0
		.amdhsa_float_round_mode_16_64 0
		.amdhsa_float_denorm_mode_32 3
		.amdhsa_float_denorm_mode_16_64 3
		.amdhsa_dx10_clamp 1
		.amdhsa_ieee_mode 1
		.amdhsa_fp16_overflow 0
		.amdhsa_tg_split 0
		.amdhsa_exception_fp_ieee_invalid_op 0
		.amdhsa_exception_fp_denorm_src 0
		.amdhsa_exception_fp_ieee_div_zero 0
		.amdhsa_exception_fp_ieee_overflow 0
		.amdhsa_exception_fp_ieee_underflow 0
		.amdhsa_exception_fp_ieee_inexact 0
		.amdhsa_exception_int_div_zero 0
	.end_amdhsa_kernel
	.section	.text._ZN2at6native12_GLOBAL__N_136ctc_loss_backward_collect_gpu_kernelIfiEEvPT_PKS3_lS6_S6_S6_PKllPKT0_S8_lS6_llllllllllllS8_llllb,"axG",@progbits,_ZN2at6native12_GLOBAL__N_136ctc_loss_backward_collect_gpu_kernelIfiEEvPT_PKS3_lS6_S6_S6_PKllPKT0_S8_lS6_llllllllllllS8_llllb,comdat
.Lfunc_end17:
	.size	_ZN2at6native12_GLOBAL__N_136ctc_loss_backward_collect_gpu_kernelIfiEEvPT_PKS3_lS6_S6_S6_PKllPKT0_S8_lS6_llllllllllllS8_llllb, .Lfunc_end17-_ZN2at6native12_GLOBAL__N_136ctc_loss_backward_collect_gpu_kernelIfiEEvPT_PKS3_lS6_S6_S6_PKllPKT0_S8_lS6_llllllllllllS8_llllb
                                        ; -- End function
	.section	.AMDGPU.csdata,"",@progbits
; Kernel info:
; codeLenInByte = 1836
; NumSgprs: 55
; NumVgprs: 32
; NumAgprs: 0
; TotalNumVgprs: 32
; ScratchSize: 0
; MemoryBound: 0
; FloatMode: 240
; IeeeMode: 1
; LDSByteSize: 0 bytes/workgroup (compile time only)
; SGPRBlocks: 6
; VGPRBlocks: 3
; NumSGPRsForWavesPerEU: 55
; NumVGPRsForWavesPerEU: 32
; AccumOffset: 32
; Occupancy: 8
; WaveLimiterHint : 1
; COMPUTE_PGM_RSRC2:SCRATCH_EN: 0
; COMPUTE_PGM_RSRC2:USER_SGPR: 6
; COMPUTE_PGM_RSRC2:TRAP_HANDLER: 0
; COMPUTE_PGM_RSRC2:TGID_X_EN: 1
; COMPUTE_PGM_RSRC2:TGID_Y_EN: 1
; COMPUTE_PGM_RSRC2:TGID_Z_EN: 0
; COMPUTE_PGM_RSRC2:TIDIG_COMP_CNT: 1
; COMPUTE_PGM_RSRC3_GFX90A:ACCUM_OFFSET: 7
; COMPUTE_PGM_RSRC3_GFX90A:TG_SPLIT: 0
	.text
	.p2alignl 6, 3212836864
	.fill 256, 4, 3212836864
	.type	__hip_cuid_c6e86a3301817ff6,@object ; @__hip_cuid_c6e86a3301817ff6
	.section	.bss,"aw",@nobits
	.globl	__hip_cuid_c6e86a3301817ff6
__hip_cuid_c6e86a3301817ff6:
	.byte	0                               ; 0x0
	.size	__hip_cuid_c6e86a3301817ff6, 1

	.ident	"AMD clang version 19.0.0git (https://github.com/RadeonOpenCompute/llvm-project roc-6.4.0 25133 c7fe45cf4b819c5991fe208aaa96edf142730f1d)"
	.section	".note.GNU-stack","",@progbits
	.addrsig
	.addrsig_sym __hip_cuid_c6e86a3301817ff6
	.amdgpu_metadata
---
amdhsa.kernels:
  - .agpr_count:     0
    .args:
      - .address_space:  global
        .offset:         0
        .size:           8
        .value_kind:     global_buffer
      - .address_space:  global
        .offset:         8
        .size:           8
        .value_kind:     global_buffer
      - .actual_access:  read_only
        .address_space:  global
        .offset:         16
        .size:           8
        .value_kind:     global_buffer
      - .offset:         24
        .size:           8
        .value_kind:     by_value
      - .actual_access:  read_only
        .address_space:  global
        .offset:         32
        .size:           8
        .value_kind:     global_buffer
      - .actual_access:  read_only
        .address_space:  global
        .offset:         40
        .size:           8
        .value_kind:     global_buffer
      - .offset:         48
        .size:           8
        .value_kind:     by_value
      - .actual_access:  write_only
        .address_space:  global
        .offset:         56
        .size:           8
        .value_kind:     global_buffer
      - .offset:         64
        .size:           8
        .value_kind:     by_value
      - .offset:         72
        .size:           8
        .value_kind:     by_value
      - .offset:         80
        .size:           8
        .value_kind:     by_value
      - .offset:         88
        .size:           8
        .value_kind:     by_value
      - .offset:         96
        .size:           8
        .value_kind:     by_value
      - .offset:         104
        .size:           8
        .value_kind:     by_value
      - .actual_access:  read_only
        .address_space:  global
        .offset:         112
        .size:           8
        .value_kind:     global_buffer
      - .offset:         120
        .size:           8
        .value_kind:     by_value
      - .offset:         128
        .size:           8
        .value_kind:     by_value
      - .offset:         136
        .size:           8
        .value_kind:     by_value
      - .offset:         144
        .size:           4
        .value_kind:     hidden_block_count_x
      - .offset:         148
        .size:           4
        .value_kind:     hidden_block_count_y
      - .offset:         152
        .size:           4
        .value_kind:     hidden_block_count_z
      - .offset:         156
        .size:           2
        .value_kind:     hidden_group_size_x
      - .offset:         158
        .size:           2
        .value_kind:     hidden_group_size_y
      - .offset:         160
        .size:           2
        .value_kind:     hidden_group_size_z
      - .offset:         162
        .size:           2
        .value_kind:     hidden_remainder_x
      - .offset:         164
        .size:           2
        .value_kind:     hidden_remainder_y
      - .offset:         166
        .size:           2
        .value_kind:     hidden_remainder_z
      - .offset:         184
        .size:           8
        .value_kind:     hidden_global_offset_x
      - .offset:         192
        .size:           8
        .value_kind:     hidden_global_offset_y
      - .offset:         200
        .size:           8
        .value_kind:     hidden_global_offset_z
      - .offset:         208
        .size:           2
        .value_kind:     hidden_grid_dims
    .group_segment_fixed_size: 0
    .kernarg_segment_align: 8
    .kernarg_segment_size: 400
    .language:       OpenCL C
    .language_version:
      - 2
      - 0
    .max_flat_workgroup_size: 896
    .name:           _ZN2at6native12_GLOBAL__N_129ctc_loss_log_alpha_gpu_kernelIdlEEvPT_PKS3_PKllPKT0_S8_lS4_llllllS8_lll
    .private_segment_fixed_size: 0
    .sgpr_count:     97
    .sgpr_spill_count: 0
    .symbol:         _ZN2at6native12_GLOBAL__N_129ctc_loss_log_alpha_gpu_kernelIdlEEvPT_PKS3_PKllPKT0_S8_lS4_llllllS8_lll.kd
    .uniform_work_group_size: 1
    .uses_dynamic_stack: false
    .vgpr_count:     70
    .vgpr_spill_count: 0
    .wavefront_size: 64
  - .agpr_count:     0
    .args:
      - .address_space:  global
        .offset:         0
        .size:           8
        .value_kind:     global_buffer
      - .address_space:  global
        .offset:         8
        .size:           8
        .value_kind:     global_buffer
      - .actual_access:  read_only
        .address_space:  global
        .offset:         16
        .size:           8
        .value_kind:     global_buffer
      - .offset:         24
        .size:           8
        .value_kind:     by_value
      - .actual_access:  read_only
        .address_space:  global
        .offset:         32
        .size:           8
        .value_kind:     global_buffer
      - .actual_access:  read_only
        .address_space:  global
        .offset:         40
        .size:           8
        .value_kind:     global_buffer
      - .offset:         48
        .size:           8
        .value_kind:     by_value
      - .actual_access:  write_only
        .address_space:  global
        .offset:         56
        .size:           8
        .value_kind:     global_buffer
      - .offset:         64
        .size:           8
        .value_kind:     by_value
      - .offset:         72
        .size:           8
        .value_kind:     by_value
      - .offset:         80
        .size:           8
        .value_kind:     by_value
      - .offset:         88
        .size:           8
        .value_kind:     by_value
      - .offset:         96
        .size:           8
        .value_kind:     by_value
      - .offset:         104
        .size:           8
        .value_kind:     by_value
      - .actual_access:  read_only
        .address_space:  global
        .offset:         112
        .size:           8
        .value_kind:     global_buffer
      - .offset:         120
        .size:           8
        .value_kind:     by_value
      - .offset:         128
        .size:           8
        .value_kind:     by_value
      - .offset:         136
        .size:           8
        .value_kind:     by_value
      - .offset:         144
        .size:           4
        .value_kind:     hidden_block_count_x
      - .offset:         148
        .size:           4
        .value_kind:     hidden_block_count_y
      - .offset:         152
        .size:           4
        .value_kind:     hidden_block_count_z
      - .offset:         156
        .size:           2
        .value_kind:     hidden_group_size_x
      - .offset:         158
        .size:           2
        .value_kind:     hidden_group_size_y
      - .offset:         160
        .size:           2
        .value_kind:     hidden_group_size_z
      - .offset:         162
        .size:           2
        .value_kind:     hidden_remainder_x
      - .offset:         164
        .size:           2
        .value_kind:     hidden_remainder_y
      - .offset:         166
        .size:           2
        .value_kind:     hidden_remainder_z
      - .offset:         184
        .size:           8
        .value_kind:     hidden_global_offset_x
      - .offset:         192
        .size:           8
        .value_kind:     hidden_global_offset_y
      - .offset:         200
        .size:           8
        .value_kind:     hidden_global_offset_z
      - .offset:         208
        .size:           2
        .value_kind:     hidden_grid_dims
    .group_segment_fixed_size: 0
    .kernarg_segment_align: 8
    .kernarg_segment_size: 400
    .language:       OpenCL C
    .language_version:
      - 2
      - 0
    .max_flat_workgroup_size: 896
    .name:           _ZN2at6native12_GLOBAL__N_129ctc_loss_log_alpha_gpu_kernelIdiEEvPT_PKS3_PKllPKT0_S8_lS4_llllllS8_lll
    .private_segment_fixed_size: 0
    .sgpr_count:     97
    .sgpr_spill_count: 0
    .symbol:         _ZN2at6native12_GLOBAL__N_129ctc_loss_log_alpha_gpu_kernelIdiEEvPT_PKS3_PKllPKT0_S8_lS4_llllllS8_lll.kd
    .uniform_work_group_size: 1
    .uses_dynamic_stack: false
    .vgpr_count:     70
    .vgpr_spill_count: 0
    .wavefront_size: 64
  - .agpr_count:     0
    .args:
      - .address_space:  global
        .offset:         0
        .size:           8
        .value_kind:     global_buffer
      - .address_space:  global
        .offset:         8
        .size:           8
        .value_kind:     global_buffer
      - .actual_access:  read_only
        .address_space:  global
        .offset:         16
        .size:           8
        .value_kind:     global_buffer
      - .offset:         24
        .size:           8
        .value_kind:     by_value
      - .actual_access:  read_only
        .address_space:  global
        .offset:         32
        .size:           8
        .value_kind:     global_buffer
      - .actual_access:  read_only
        .address_space:  global
        .offset:         40
        .size:           8
        .value_kind:     global_buffer
      - .offset:         48
        .size:           8
        .value_kind:     by_value
      - .actual_access:  write_only
        .address_space:  global
        .offset:         56
        .size:           8
        .value_kind:     global_buffer
      - .offset:         64
        .size:           8
        .value_kind:     by_value
      - .offset:         72
        .size:           8
        .value_kind:     by_value
      - .offset:         80
        .size:           8
        .value_kind:     by_value
      - .offset:         88
        .size:           8
        .value_kind:     by_value
      - .offset:         96
        .size:           8
        .value_kind:     by_value
      - .offset:         104
        .size:           8
        .value_kind:     by_value
      - .actual_access:  read_only
        .address_space:  global
        .offset:         112
        .size:           8
        .value_kind:     global_buffer
      - .offset:         120
        .size:           8
        .value_kind:     by_value
      - .offset:         128
        .size:           8
        .value_kind:     by_value
      - .offset:         136
        .size:           8
        .value_kind:     by_value
      - .offset:         144
        .size:           4
        .value_kind:     hidden_block_count_x
      - .offset:         148
        .size:           4
        .value_kind:     hidden_block_count_y
      - .offset:         152
        .size:           4
        .value_kind:     hidden_block_count_z
      - .offset:         156
        .size:           2
        .value_kind:     hidden_group_size_x
      - .offset:         158
        .size:           2
        .value_kind:     hidden_group_size_y
      - .offset:         160
        .size:           2
        .value_kind:     hidden_group_size_z
      - .offset:         162
        .size:           2
        .value_kind:     hidden_remainder_x
      - .offset:         164
        .size:           2
        .value_kind:     hidden_remainder_y
      - .offset:         166
        .size:           2
        .value_kind:     hidden_remainder_z
      - .offset:         184
        .size:           8
        .value_kind:     hidden_global_offset_x
      - .offset:         192
        .size:           8
        .value_kind:     hidden_global_offset_y
      - .offset:         200
        .size:           8
        .value_kind:     hidden_global_offset_z
      - .offset:         208
        .size:           2
        .value_kind:     hidden_grid_dims
    .group_segment_fixed_size: 0
    .kernarg_segment_align: 8
    .kernarg_segment_size: 400
    .language:       OpenCL C
    .language_version:
      - 2
      - 0
    .max_flat_workgroup_size: 1024
    .name:           _ZN2at6native12_GLOBAL__N_129ctc_loss_log_alpha_gpu_kernelIflEEvPT_PKS3_PKllPKT0_S8_lS4_llllllS8_lll
    .private_segment_fixed_size: 0
    .sgpr_count:     63
    .sgpr_spill_count: 0
    .symbol:         _ZN2at6native12_GLOBAL__N_129ctc_loss_log_alpha_gpu_kernelIflEEvPT_PKS3_PKllPKT0_S8_lS4_llllllS8_lll.kd
    .uniform_work_group_size: 1
    .uses_dynamic_stack: false
    .vgpr_count:     50
    .vgpr_spill_count: 0
    .wavefront_size: 64
  - .agpr_count:     0
    .args:
      - .address_space:  global
        .offset:         0
        .size:           8
        .value_kind:     global_buffer
      - .address_space:  global
        .offset:         8
        .size:           8
        .value_kind:     global_buffer
      - .actual_access:  read_only
        .address_space:  global
        .offset:         16
        .size:           8
        .value_kind:     global_buffer
      - .offset:         24
        .size:           8
        .value_kind:     by_value
      - .actual_access:  read_only
        .address_space:  global
        .offset:         32
        .size:           8
        .value_kind:     global_buffer
      - .actual_access:  read_only
        .address_space:  global
        .offset:         40
        .size:           8
        .value_kind:     global_buffer
      - .offset:         48
        .size:           8
        .value_kind:     by_value
      - .actual_access:  write_only
        .address_space:  global
        .offset:         56
        .size:           8
        .value_kind:     global_buffer
      - .offset:         64
        .size:           8
        .value_kind:     by_value
      - .offset:         72
        .size:           8
        .value_kind:     by_value
      - .offset:         80
        .size:           8
        .value_kind:     by_value
      - .offset:         88
        .size:           8
        .value_kind:     by_value
      - .offset:         96
        .size:           8
        .value_kind:     by_value
      - .offset:         104
        .size:           8
        .value_kind:     by_value
      - .actual_access:  read_only
        .address_space:  global
        .offset:         112
        .size:           8
        .value_kind:     global_buffer
      - .offset:         120
        .size:           8
        .value_kind:     by_value
      - .offset:         128
        .size:           8
        .value_kind:     by_value
      - .offset:         136
        .size:           8
        .value_kind:     by_value
      - .offset:         144
        .size:           4
        .value_kind:     hidden_block_count_x
      - .offset:         148
        .size:           4
        .value_kind:     hidden_block_count_y
      - .offset:         152
        .size:           4
        .value_kind:     hidden_block_count_z
      - .offset:         156
        .size:           2
        .value_kind:     hidden_group_size_x
      - .offset:         158
        .size:           2
        .value_kind:     hidden_group_size_y
      - .offset:         160
        .size:           2
        .value_kind:     hidden_group_size_z
      - .offset:         162
        .size:           2
        .value_kind:     hidden_remainder_x
      - .offset:         164
        .size:           2
        .value_kind:     hidden_remainder_y
      - .offset:         166
        .size:           2
        .value_kind:     hidden_remainder_z
      - .offset:         184
        .size:           8
        .value_kind:     hidden_global_offset_x
      - .offset:         192
        .size:           8
        .value_kind:     hidden_global_offset_y
      - .offset:         200
        .size:           8
        .value_kind:     hidden_global_offset_z
      - .offset:         208
        .size:           2
        .value_kind:     hidden_grid_dims
    .group_segment_fixed_size: 0
    .kernarg_segment_align: 8
    .kernarg_segment_size: 400
    .language:       OpenCL C
    .language_version:
      - 2
      - 0
    .max_flat_workgroup_size: 1024
    .name:           _ZN2at6native12_GLOBAL__N_129ctc_loss_log_alpha_gpu_kernelIfiEEvPT_PKS3_PKllPKT0_S8_lS4_llllllS8_lll
    .private_segment_fixed_size: 0
    .sgpr_count:     63
    .sgpr_spill_count: 0
    .symbol:         _ZN2at6native12_GLOBAL__N_129ctc_loss_log_alpha_gpu_kernelIfiEEvPT_PKS3_PKllPKT0_S8_lS4_llllllS8_lll.kd
    .uniform_work_group_size: 1
    .uses_dynamic_stack: false
    .vgpr_count:     50
    .vgpr_spill_count: 0
    .wavefront_size: 64
  - .agpr_count:     0
    .args:
      - .address_space:  global
        .offset:         0
        .size:           8
        .value_kind:     global_buffer
      - .address_space:  global
        .offset:         8
        .size:           8
        .value_kind:     global_buffer
      - .actual_access:  read_only
        .address_space:  global
        .offset:         16
        .size:           8
        .value_kind:     global_buffer
      - .offset:         24
        .size:           8
        .value_kind:     by_value
      - .actual_access:  read_only
        .address_space:  global
        .offset:         32
        .size:           8
        .value_kind:     global_buffer
      - .actual_access:  read_only
        .address_space:  global
        .offset:         40
        .size:           8
        .value_kind:     global_buffer
      - .offset:         48
        .size:           8
        .value_kind:     by_value
      - .offset:         56
        .size:           8
        .value_kind:     by_value
      - .offset:         64
        .size:           8
        .value_kind:     by_value
      - .offset:         72
        .size:           8
        .value_kind:     by_value
      - .offset:         80
        .size:           8
        .value_kind:     by_value
      - .offset:         88
        .size:           8
        .value_kind:     by_value
      - .offset:         96
        .size:           8
        .value_kind:     by_value
      - .actual_access:  read_only
        .address_space:  global
        .offset:         104
        .size:           8
        .value_kind:     global_buffer
      - .offset:         112
        .size:           8
        .value_kind:     by_value
      - .offset:         120
        .size:           8
        .value_kind:     by_value
      - .offset:         128
        .size:           8
        .value_kind:     by_value
      - .offset:         136
        .size:           4
        .value_kind:     hidden_block_count_x
      - .offset:         140
        .size:           4
        .value_kind:     hidden_block_count_y
      - .offset:         144
        .size:           4
        .value_kind:     hidden_block_count_z
      - .offset:         148
        .size:           2
        .value_kind:     hidden_group_size_x
      - .offset:         150
        .size:           2
        .value_kind:     hidden_group_size_y
      - .offset:         152
        .size:           2
        .value_kind:     hidden_group_size_z
      - .offset:         154
        .size:           2
        .value_kind:     hidden_remainder_x
      - .offset:         156
        .size:           2
        .value_kind:     hidden_remainder_y
      - .offset:         158
        .size:           2
        .value_kind:     hidden_remainder_z
      - .offset:         176
        .size:           8
        .value_kind:     hidden_global_offset_x
      - .offset:         184
        .size:           8
        .value_kind:     hidden_global_offset_y
      - .offset:         192
        .size:           8
        .value_kind:     hidden_global_offset_z
      - .offset:         200
        .size:           2
        .value_kind:     hidden_grid_dims
    .group_segment_fixed_size: 0
    .kernarg_segment_align: 8
    .kernarg_segment_size: 392
    .language:       OpenCL C
    .language_version:
      - 2
      - 0
    .max_flat_workgroup_size: 896
    .name:           _ZN2at6native12_GLOBAL__N_137ctc_loss_backward_log_beta_gpu_kernelIdlEEvPT_PKS3_PKllPKT0_S8_lllllllS8_lll
    .private_segment_fixed_size: 0
    .sgpr_count:     91
    .sgpr_spill_count: 0
    .symbol:         _ZN2at6native12_GLOBAL__N_137ctc_loss_backward_log_beta_gpu_kernelIdlEEvPT_PKS3_PKllPKT0_S8_lllllllS8_lll.kd
    .uniform_work_group_size: 1
    .uses_dynamic_stack: false
    .vgpr_count:     70
    .vgpr_spill_count: 0
    .wavefront_size: 64
  - .agpr_count:     0
    .args:
      - .address_space:  global
        .offset:         0
        .size:           8
        .value_kind:     global_buffer
      - .actual_access:  read_only
        .address_space:  global
        .offset:         8
        .size:           8
        .value_kind:     global_buffer
      - .offset:         16
        .size:           8
        .value_kind:     by_value
      - .actual_access:  read_only
        .address_space:  global
        .offset:         24
        .size:           8
        .value_kind:     global_buffer
      - .actual_access:  read_only
        .address_space:  global
        .offset:         32
        .size:           8
        .value_kind:     global_buffer
      - .address_space:  global
        .offset:         40
        .size:           8
        .value_kind:     global_buffer
      - .actual_access:  read_only
        .address_space:  global
        .offset:         48
        .size:           8
        .value_kind:     global_buffer
      - .actual_access:  read_only
        .address_space:  global
        .offset:         56
        .size:           8
        .value_kind:     global_buffer
      - .actual_access:  read_only
        .address_space:  global
        .offset:         64
        .size:           8
        .value_kind:     global_buffer
      - .actual_access:  read_only
        .address_space:  global
        .offset:         72
        .size:           8
        .value_kind:     global_buffer
      - .offset:         80
        .size:           8
        .value_kind:     by_value
      - .offset:         88
        .size:           8
        .value_kind:     by_value
      - .offset:         96
        .size:           8
        .value_kind:     by_value
      - .offset:         104
        .size:           8
        .value_kind:     by_value
      - .offset:         112
        .size:           8
        .value_kind:     by_value
      - .offset:         120
        .size:           8
        .value_kind:     by_value
      - .offset:         128
        .size:           8
        .value_kind:     by_value
      - .offset:         136
        .size:           8
        .value_kind:     by_value
      - .offset:         144
        .size:           8
        .value_kind:     by_value
      - .offset:         152
        .size:           8
        .value_kind:     by_value
      - .offset:         160
        .size:           8
        .value_kind:     by_value
      - .offset:         168
        .size:           8
        .value_kind:     by_value
      - .actual_access:  read_only
        .address_space:  global
        .offset:         176
        .size:           8
        .value_kind:     global_buffer
      - .offset:         184
        .size:           8
        .value_kind:     by_value
      - .offset:         192
        .size:           8
        .value_kind:     by_value
      - .offset:         200
        .size:           1
        .value_kind:     by_value
      - .offset:         208
        .size:           4
        .value_kind:     hidden_block_count_x
      - .offset:         212
        .size:           4
        .value_kind:     hidden_block_count_y
      - .offset:         216
        .size:           4
        .value_kind:     hidden_block_count_z
      - .offset:         220
        .size:           2
        .value_kind:     hidden_group_size_x
      - .offset:         222
        .size:           2
        .value_kind:     hidden_group_size_y
      - .offset:         224
        .size:           2
        .value_kind:     hidden_group_size_z
      - .offset:         226
        .size:           2
        .value_kind:     hidden_remainder_x
      - .offset:         228
        .size:           2
        .value_kind:     hidden_remainder_y
      - .offset:         230
        .size:           2
        .value_kind:     hidden_remainder_z
      - .offset:         248
        .size:           8
        .value_kind:     hidden_global_offset_x
      - .offset:         256
        .size:           8
        .value_kind:     hidden_global_offset_y
      - .offset:         264
        .size:           8
        .value_kind:     hidden_global_offset_z
      - .offset:         272
        .size:           2
        .value_kind:     hidden_grid_dims
    .group_segment_fixed_size: 0
    .kernarg_segment_align: 8
    .kernarg_segment_size: 464
    .language:       OpenCL C
    .language_version:
      - 2
      - 0
    .max_flat_workgroup_size: 896
    .name:           _ZN2at6native12_GLOBAL__N_145ctc_loss_backward_collect_nonblank_gpu_kernelIdlEEvPT_PKS3_lS6_S6_S6_PKlPKT0_S8_S6_llllllllllllS8_llb
    .private_segment_fixed_size: 0
    .sgpr_count:     60
    .sgpr_spill_count: 0
    .symbol:         _ZN2at6native12_GLOBAL__N_145ctc_loss_backward_collect_nonblank_gpu_kernelIdlEEvPT_PKS3_lS6_S6_S6_PKlPKT0_S8_S6_llllllllllllS8_llb.kd
    .uniform_work_group_size: 1
    .uses_dynamic_stack: false
    .vgpr_count:     59
    .vgpr_spill_count: 0
    .wavefront_size: 64
  - .agpr_count:     0
    .args:
      - .address_space:  global
        .offset:         0
        .size:           8
        .value_kind:     global_buffer
      - .actual_access:  read_only
        .address_space:  global
        .offset:         8
        .size:           8
        .value_kind:     global_buffer
      - .offset:         16
        .size:           8
        .value_kind:     by_value
      - .actual_access:  read_only
        .address_space:  global
        .offset:         24
        .size:           8
        .value_kind:     global_buffer
      - .actual_access:  read_only
        .address_space:  global
        .offset:         32
        .size:           8
        .value_kind:     global_buffer
      - .address_space:  global
        .offset:         40
        .size:           8
        .value_kind:     global_buffer
      - .actual_access:  read_only
        .address_space:  global
        .offset:         48
        .size:           8
        .value_kind:     global_buffer
      - .offset:         56
        .size:           8
        .value_kind:     by_value
      - .actual_access:  read_only
        .address_space:  global
        .offset:         64
        .size:           8
        .value_kind:     global_buffer
      - .actual_access:  read_only
        .address_space:  global
        .offset:         72
        .size:           8
        .value_kind:     global_buffer
      - .offset:         80
        .size:           8
        .value_kind:     by_value
      - .actual_access:  read_only
        .address_space:  global
        .offset:         88
        .size:           8
        .value_kind:     global_buffer
      - .offset:         96
        .size:           8
        .value_kind:     by_value
      - .offset:         104
        .size:           8
        .value_kind:     by_value
      - .offset:         112
        .size:           8
        .value_kind:     by_value
      - .offset:         120
        .size:           8
        .value_kind:     by_value
      - .offset:         128
        .size:           8
        .value_kind:     by_value
      - .offset:         136
        .size:           8
        .value_kind:     by_value
      - .offset:         144
        .size:           8
        .value_kind:     by_value
      - .offset:         152
        .size:           8
        .value_kind:     by_value
      - .offset:         160
        .size:           8
        .value_kind:     by_value
      - .offset:         168
        .size:           8
        .value_kind:     by_value
      - .offset:         176
        .size:           8
        .value_kind:     by_value
      - .offset:         184
        .size:           8
        .value_kind:     by_value
      - .actual_access:  read_only
        .address_space:  global
        .offset:         192
        .size:           8
        .value_kind:     global_buffer
      - .offset:         200
        .size:           8
        .value_kind:     by_value
      - .offset:         208
        .size:           8
        .value_kind:     by_value
      - .offset:         216
        .size:           8
        .value_kind:     by_value
      - .offset:         224
        .size:           8
        .value_kind:     by_value
      - .offset:         232
        .size:           1
        .value_kind:     by_value
      - .offset:         240
        .size:           4
        .value_kind:     hidden_block_count_x
      - .offset:         244
        .size:           4
        .value_kind:     hidden_block_count_y
      - .offset:         248
        .size:           4
        .value_kind:     hidden_block_count_z
      - .offset:         252
        .size:           2
        .value_kind:     hidden_group_size_x
      - .offset:         254
        .size:           2
        .value_kind:     hidden_group_size_y
      - .offset:         256
        .size:           2
        .value_kind:     hidden_group_size_z
      - .offset:         258
        .size:           2
        .value_kind:     hidden_remainder_x
      - .offset:         260
        .size:           2
        .value_kind:     hidden_remainder_y
      - .offset:         262
        .size:           2
        .value_kind:     hidden_remainder_z
      - .offset:         280
        .size:           8
        .value_kind:     hidden_global_offset_x
      - .offset:         288
        .size:           8
        .value_kind:     hidden_global_offset_y
      - .offset:         296
        .size:           8
        .value_kind:     hidden_global_offset_z
      - .offset:         304
        .size:           2
        .value_kind:     hidden_grid_dims
    .group_segment_fixed_size: 0
    .kernarg_segment_align: 8
    .kernarg_segment_size: 496
    .language:       OpenCL C
    .language_version:
      - 2
      - 0
    .max_flat_workgroup_size: 896
    .name:           _ZN2at6native12_GLOBAL__N_136ctc_loss_backward_collect_gpu_kernelIdlEEvPT_PKS3_lS6_S6_S6_PKllPKT0_S8_lS6_llllllllllllS8_llllb
    .private_segment_fixed_size: 0
    .sgpr_count:     82
    .sgpr_spill_count: 0
    .symbol:         _ZN2at6native12_GLOBAL__N_136ctc_loss_backward_collect_gpu_kernelIdlEEvPT_PKS3_lS6_S6_S6_PKllPKT0_S8_lS6_llllllllllllS8_llllb.kd
    .uniform_work_group_size: 1
    .uses_dynamic_stack: false
    .vgpr_count:     60
    .vgpr_spill_count: 0
    .wavefront_size: 64
  - .agpr_count:     0
    .args:
      - .actual_access:  write_only
        .address_space:  global
        .offset:         0
        .size:           8
        .value_kind:     global_buffer
      - .actual_access:  read_only
        .address_space:  global
        .offset:         8
        .size:           8
        .value_kind:     global_buffer
      - .offset:         16
        .size:           8
        .value_kind:     by_value
      - .offset:         24
        .size:           8
        .value_kind:     by_value
      - .offset:         32
        .size:           8
        .value_kind:     by_value
      - .offset:         40
        .size:           8
        .value_kind:     by_value
      - .offset:         48
        .size:           8
        .value_kind:     by_value
      - .offset:         56
        .size:           8
        .value_kind:     by_value
      - .offset:         64
        .size:           4
        .value_kind:     hidden_block_count_x
      - .offset:         68
        .size:           4
        .value_kind:     hidden_block_count_y
      - .offset:         72
        .size:           4
        .value_kind:     hidden_block_count_z
      - .offset:         76
        .size:           2
        .value_kind:     hidden_group_size_x
      - .offset:         78
        .size:           2
        .value_kind:     hidden_group_size_y
      - .offset:         80
        .size:           2
        .value_kind:     hidden_group_size_z
      - .offset:         82
        .size:           2
        .value_kind:     hidden_remainder_x
      - .offset:         84
        .size:           2
        .value_kind:     hidden_remainder_y
      - .offset:         86
        .size:           2
        .value_kind:     hidden_remainder_z
      - .offset:         104
        .size:           8
        .value_kind:     hidden_global_offset_x
      - .offset:         112
        .size:           8
        .value_kind:     hidden_global_offset_y
      - .offset:         120
        .size:           8
        .value_kind:     hidden_global_offset_z
      - .offset:         128
        .size:           2
        .value_kind:     hidden_grid_dims
    .group_segment_fixed_size: 0
    .kernarg_segment_align: 8
    .kernarg_segment_size: 320
    .language:       OpenCL C
    .language_version:
      - 2
      - 0
    .max_flat_workgroup_size: 896
    .name:           _ZN2at6native12_GLOBAL__N_130ctc_loss_zero_padded_gradientsIdEEvPT_PKlllllll
    .private_segment_fixed_size: 0
    .sgpr_count:     22
    .sgpr_spill_count: 0
    .symbol:         _ZN2at6native12_GLOBAL__N_130ctc_loss_zero_padded_gradientsIdEEvPT_PKlllllll.kd
    .uniform_work_group_size: 1
    .uses_dynamic_stack: false
    .vgpr_count:     10
    .vgpr_spill_count: 0
    .wavefront_size: 64
  - .agpr_count:     0
    .args:
      - .address_space:  global
        .offset:         0
        .size:           8
        .value_kind:     global_buffer
      - .address_space:  global
        .offset:         8
        .size:           8
        .value_kind:     global_buffer
      - .actual_access:  read_only
        .address_space:  global
        .offset:         16
        .size:           8
        .value_kind:     global_buffer
      - .offset:         24
        .size:           8
        .value_kind:     by_value
      - .actual_access:  read_only
        .address_space:  global
        .offset:         32
        .size:           8
        .value_kind:     global_buffer
      - .actual_access:  read_only
        .address_space:  global
        .offset:         40
        .size:           8
        .value_kind:     global_buffer
      - .offset:         48
        .size:           8
        .value_kind:     by_value
      - .offset:         56
        .size:           8
        .value_kind:     by_value
      - .offset:         64
        .size:           8
        .value_kind:     by_value
      - .offset:         72
        .size:           8
        .value_kind:     by_value
      - .offset:         80
        .size:           8
        .value_kind:     by_value
      - .offset:         88
        .size:           8
        .value_kind:     by_value
      - .offset:         96
        .size:           8
        .value_kind:     by_value
      - .actual_access:  read_only
        .address_space:  global
        .offset:         104
        .size:           8
        .value_kind:     global_buffer
      - .offset:         112
        .size:           8
        .value_kind:     by_value
      - .offset:         120
        .size:           8
        .value_kind:     by_value
      - .offset:         128
        .size:           8
        .value_kind:     by_value
      - .offset:         136
        .size:           4
        .value_kind:     hidden_block_count_x
      - .offset:         140
        .size:           4
        .value_kind:     hidden_block_count_y
      - .offset:         144
        .size:           4
        .value_kind:     hidden_block_count_z
      - .offset:         148
        .size:           2
        .value_kind:     hidden_group_size_x
      - .offset:         150
        .size:           2
        .value_kind:     hidden_group_size_y
      - .offset:         152
        .size:           2
        .value_kind:     hidden_group_size_z
      - .offset:         154
        .size:           2
        .value_kind:     hidden_remainder_x
      - .offset:         156
        .size:           2
        .value_kind:     hidden_remainder_y
      - .offset:         158
        .size:           2
        .value_kind:     hidden_remainder_z
      - .offset:         176
        .size:           8
        .value_kind:     hidden_global_offset_x
      - .offset:         184
        .size:           8
        .value_kind:     hidden_global_offset_y
      - .offset:         192
        .size:           8
        .value_kind:     hidden_global_offset_z
      - .offset:         200
        .size:           2
        .value_kind:     hidden_grid_dims
    .group_segment_fixed_size: 0
    .kernarg_segment_align: 8
    .kernarg_segment_size: 392
    .language:       OpenCL C
    .language_version:
      - 2
      - 0
    .max_flat_workgroup_size: 896
    .name:           _ZN2at6native12_GLOBAL__N_137ctc_loss_backward_log_beta_gpu_kernelIdiEEvPT_PKS3_PKllPKT0_S8_lllllllS8_lll
    .private_segment_fixed_size: 0
    .sgpr_count:     91
    .sgpr_spill_count: 0
    .symbol:         _ZN2at6native12_GLOBAL__N_137ctc_loss_backward_log_beta_gpu_kernelIdiEEvPT_PKS3_PKllPKT0_S8_lllllllS8_lll.kd
    .uniform_work_group_size: 1
    .uses_dynamic_stack: false
    .vgpr_count:     70
    .vgpr_spill_count: 0
    .wavefront_size: 64
  - .agpr_count:     0
    .args:
      - .address_space:  global
        .offset:         0
        .size:           8
        .value_kind:     global_buffer
      - .actual_access:  read_only
        .address_space:  global
        .offset:         8
        .size:           8
        .value_kind:     global_buffer
      - .offset:         16
        .size:           8
        .value_kind:     by_value
      - .actual_access:  read_only
        .address_space:  global
        .offset:         24
        .size:           8
        .value_kind:     global_buffer
      - .actual_access:  read_only
        .address_space:  global
        .offset:         32
        .size:           8
        .value_kind:     global_buffer
      - .address_space:  global
        .offset:         40
        .size:           8
        .value_kind:     global_buffer
      - .actual_access:  read_only
        .address_space:  global
        .offset:         48
        .size:           8
        .value_kind:     global_buffer
      - .actual_access:  read_only
        .address_space:  global
        .offset:         56
        .size:           8
        .value_kind:     global_buffer
      - .actual_access:  read_only
        .address_space:  global
        .offset:         64
        .size:           8
        .value_kind:     global_buffer
      - .actual_access:  read_only
        .address_space:  global
        .offset:         72
        .size:           8
        .value_kind:     global_buffer
      - .offset:         80
        .size:           8
        .value_kind:     by_value
      - .offset:         88
        .size:           8
        .value_kind:     by_value
      - .offset:         96
        .size:           8
        .value_kind:     by_value
      - .offset:         104
        .size:           8
        .value_kind:     by_value
      - .offset:         112
        .size:           8
        .value_kind:     by_value
      - .offset:         120
        .size:           8
        .value_kind:     by_value
      - .offset:         128
        .size:           8
        .value_kind:     by_value
      - .offset:         136
        .size:           8
        .value_kind:     by_value
      - .offset:         144
        .size:           8
        .value_kind:     by_value
      - .offset:         152
        .size:           8
        .value_kind:     by_value
      - .offset:         160
        .size:           8
        .value_kind:     by_value
      - .offset:         168
        .size:           8
        .value_kind:     by_value
      - .actual_access:  read_only
        .address_space:  global
        .offset:         176
        .size:           8
        .value_kind:     global_buffer
      - .offset:         184
        .size:           8
        .value_kind:     by_value
      - .offset:         192
        .size:           8
        .value_kind:     by_value
      - .offset:         200
        .size:           1
        .value_kind:     by_value
      - .offset:         208
        .size:           4
        .value_kind:     hidden_block_count_x
      - .offset:         212
        .size:           4
        .value_kind:     hidden_block_count_y
      - .offset:         216
        .size:           4
        .value_kind:     hidden_block_count_z
      - .offset:         220
        .size:           2
        .value_kind:     hidden_group_size_x
      - .offset:         222
        .size:           2
        .value_kind:     hidden_group_size_y
      - .offset:         224
        .size:           2
        .value_kind:     hidden_group_size_z
      - .offset:         226
        .size:           2
        .value_kind:     hidden_remainder_x
      - .offset:         228
        .size:           2
        .value_kind:     hidden_remainder_y
      - .offset:         230
        .size:           2
        .value_kind:     hidden_remainder_z
      - .offset:         248
        .size:           8
        .value_kind:     hidden_global_offset_x
      - .offset:         256
        .size:           8
        .value_kind:     hidden_global_offset_y
      - .offset:         264
        .size:           8
        .value_kind:     hidden_global_offset_z
      - .offset:         272
        .size:           2
        .value_kind:     hidden_grid_dims
    .group_segment_fixed_size: 0
    .kernarg_segment_align: 8
    .kernarg_segment_size: 464
    .language:       OpenCL C
    .language_version:
      - 2
      - 0
    .max_flat_workgroup_size: 896
    .name:           _ZN2at6native12_GLOBAL__N_145ctc_loss_backward_collect_nonblank_gpu_kernelIdiEEvPT_PKS3_lS6_S6_S6_PKlPKT0_S8_S6_llllllllllllS8_llb
    .private_segment_fixed_size: 0
    .sgpr_count:     60
    .sgpr_spill_count: 0
    .symbol:         _ZN2at6native12_GLOBAL__N_145ctc_loss_backward_collect_nonblank_gpu_kernelIdiEEvPT_PKS3_lS6_S6_S6_PKlPKT0_S8_S6_llllllllllllS8_llb.kd
    .uniform_work_group_size: 1
    .uses_dynamic_stack: false
    .vgpr_count:     59
    .vgpr_spill_count: 0
    .wavefront_size: 64
  - .agpr_count:     0
    .args:
      - .address_space:  global
        .offset:         0
        .size:           8
        .value_kind:     global_buffer
      - .actual_access:  read_only
        .address_space:  global
        .offset:         8
        .size:           8
        .value_kind:     global_buffer
      - .offset:         16
        .size:           8
        .value_kind:     by_value
      - .actual_access:  read_only
        .address_space:  global
        .offset:         24
        .size:           8
        .value_kind:     global_buffer
      - .actual_access:  read_only
        .address_space:  global
        .offset:         32
        .size:           8
        .value_kind:     global_buffer
      - .address_space:  global
        .offset:         40
        .size:           8
        .value_kind:     global_buffer
      - .actual_access:  read_only
        .address_space:  global
        .offset:         48
        .size:           8
        .value_kind:     global_buffer
      - .offset:         56
        .size:           8
        .value_kind:     by_value
      - .actual_access:  read_only
        .address_space:  global
        .offset:         64
        .size:           8
        .value_kind:     global_buffer
      - .actual_access:  read_only
        .address_space:  global
        .offset:         72
        .size:           8
        .value_kind:     global_buffer
      - .offset:         80
        .size:           8
        .value_kind:     by_value
      - .actual_access:  read_only
        .address_space:  global
        .offset:         88
        .size:           8
        .value_kind:     global_buffer
      - .offset:         96
        .size:           8
        .value_kind:     by_value
      - .offset:         104
        .size:           8
        .value_kind:     by_value
      - .offset:         112
        .size:           8
        .value_kind:     by_value
      - .offset:         120
        .size:           8
        .value_kind:     by_value
      - .offset:         128
        .size:           8
        .value_kind:     by_value
      - .offset:         136
        .size:           8
        .value_kind:     by_value
      - .offset:         144
        .size:           8
        .value_kind:     by_value
      - .offset:         152
        .size:           8
        .value_kind:     by_value
      - .offset:         160
        .size:           8
        .value_kind:     by_value
      - .offset:         168
        .size:           8
        .value_kind:     by_value
      - .offset:         176
        .size:           8
        .value_kind:     by_value
      - .offset:         184
        .size:           8
        .value_kind:     by_value
      - .actual_access:  read_only
        .address_space:  global
        .offset:         192
        .size:           8
        .value_kind:     global_buffer
      - .offset:         200
        .size:           8
        .value_kind:     by_value
      - .offset:         208
        .size:           8
        .value_kind:     by_value
      - .offset:         216
        .size:           8
        .value_kind:     by_value
      - .offset:         224
        .size:           8
        .value_kind:     by_value
      - .offset:         232
        .size:           1
        .value_kind:     by_value
      - .offset:         240
        .size:           4
        .value_kind:     hidden_block_count_x
      - .offset:         244
        .size:           4
        .value_kind:     hidden_block_count_y
      - .offset:         248
        .size:           4
        .value_kind:     hidden_block_count_z
      - .offset:         252
        .size:           2
        .value_kind:     hidden_group_size_x
      - .offset:         254
        .size:           2
        .value_kind:     hidden_group_size_y
      - .offset:         256
        .size:           2
        .value_kind:     hidden_group_size_z
      - .offset:         258
        .size:           2
        .value_kind:     hidden_remainder_x
      - .offset:         260
        .size:           2
        .value_kind:     hidden_remainder_y
      - .offset:         262
        .size:           2
        .value_kind:     hidden_remainder_z
      - .offset:         280
        .size:           8
        .value_kind:     hidden_global_offset_x
      - .offset:         288
        .size:           8
        .value_kind:     hidden_global_offset_y
      - .offset:         296
        .size:           8
        .value_kind:     hidden_global_offset_z
      - .offset:         304
        .size:           2
        .value_kind:     hidden_grid_dims
    .group_segment_fixed_size: 0
    .kernarg_segment_align: 8
    .kernarg_segment_size: 496
    .language:       OpenCL C
    .language_version:
      - 2
      - 0
    .max_flat_workgroup_size: 896
    .name:           _ZN2at6native12_GLOBAL__N_136ctc_loss_backward_collect_gpu_kernelIdiEEvPT_PKS3_lS6_S6_S6_PKllPKT0_S8_lS6_llllllllllllS8_llllb
    .private_segment_fixed_size: 0
    .sgpr_count:     82
    .sgpr_spill_count: 0
    .symbol:         _ZN2at6native12_GLOBAL__N_136ctc_loss_backward_collect_gpu_kernelIdiEEvPT_PKS3_lS6_S6_S6_PKllPKT0_S8_lS6_llllllllllllS8_llllb.kd
    .uniform_work_group_size: 1
    .uses_dynamic_stack: false
    .vgpr_count:     60
    .vgpr_spill_count: 0
    .wavefront_size: 64
  - .agpr_count:     0
    .args:
      - .address_space:  global
        .offset:         0
        .size:           8
        .value_kind:     global_buffer
      - .address_space:  global
        .offset:         8
        .size:           8
        .value_kind:     global_buffer
      - .actual_access:  read_only
        .address_space:  global
        .offset:         16
        .size:           8
        .value_kind:     global_buffer
      - .offset:         24
        .size:           8
        .value_kind:     by_value
      - .actual_access:  read_only
        .address_space:  global
        .offset:         32
        .size:           8
        .value_kind:     global_buffer
      - .actual_access:  read_only
        .address_space:  global
        .offset:         40
        .size:           8
        .value_kind:     global_buffer
      - .offset:         48
        .size:           8
        .value_kind:     by_value
      - .offset:         56
        .size:           8
        .value_kind:     by_value
      - .offset:         64
        .size:           8
        .value_kind:     by_value
      - .offset:         72
        .size:           8
        .value_kind:     by_value
      - .offset:         80
        .size:           8
        .value_kind:     by_value
      - .offset:         88
        .size:           8
        .value_kind:     by_value
      - .offset:         96
        .size:           8
        .value_kind:     by_value
      - .actual_access:  read_only
        .address_space:  global
        .offset:         104
        .size:           8
        .value_kind:     global_buffer
      - .offset:         112
        .size:           8
        .value_kind:     by_value
      - .offset:         120
        .size:           8
        .value_kind:     by_value
      - .offset:         128
        .size:           8
        .value_kind:     by_value
      - .offset:         136
        .size:           4
        .value_kind:     hidden_block_count_x
      - .offset:         140
        .size:           4
        .value_kind:     hidden_block_count_y
      - .offset:         144
        .size:           4
        .value_kind:     hidden_block_count_z
      - .offset:         148
        .size:           2
        .value_kind:     hidden_group_size_x
      - .offset:         150
        .size:           2
        .value_kind:     hidden_group_size_y
      - .offset:         152
        .size:           2
        .value_kind:     hidden_group_size_z
      - .offset:         154
        .size:           2
        .value_kind:     hidden_remainder_x
      - .offset:         156
        .size:           2
        .value_kind:     hidden_remainder_y
      - .offset:         158
        .size:           2
        .value_kind:     hidden_remainder_z
      - .offset:         176
        .size:           8
        .value_kind:     hidden_global_offset_x
      - .offset:         184
        .size:           8
        .value_kind:     hidden_global_offset_y
      - .offset:         192
        .size:           8
        .value_kind:     hidden_global_offset_z
      - .offset:         200
        .size:           2
        .value_kind:     hidden_grid_dims
    .group_segment_fixed_size: 0
    .kernarg_segment_align: 8
    .kernarg_segment_size: 392
    .language:       OpenCL C
    .language_version:
      - 2
      - 0
    .max_flat_workgroup_size: 1024
    .name:           _ZN2at6native12_GLOBAL__N_137ctc_loss_backward_log_beta_gpu_kernelIflEEvPT_PKS3_PKllPKT0_S8_lllllllS8_lll
    .private_segment_fixed_size: 0
    .sgpr_count:     57
    .sgpr_spill_count: 0
    .symbol:         _ZN2at6native12_GLOBAL__N_137ctc_loss_backward_log_beta_gpu_kernelIflEEvPT_PKS3_PKllPKT0_S8_lllllllS8_lll.kd
    .uniform_work_group_size: 1
    .uses_dynamic_stack: false
    .vgpr_count:     52
    .vgpr_spill_count: 0
    .wavefront_size: 64
  - .agpr_count:     0
    .args:
      - .address_space:  global
        .offset:         0
        .size:           8
        .value_kind:     global_buffer
      - .actual_access:  read_only
        .address_space:  global
        .offset:         8
        .size:           8
        .value_kind:     global_buffer
      - .offset:         16
        .size:           8
        .value_kind:     by_value
      - .actual_access:  read_only
        .address_space:  global
        .offset:         24
        .size:           8
        .value_kind:     global_buffer
      - .actual_access:  read_only
        .address_space:  global
        .offset:         32
        .size:           8
        .value_kind:     global_buffer
      - .address_space:  global
        .offset:         40
        .size:           8
        .value_kind:     global_buffer
      - .actual_access:  read_only
        .address_space:  global
        .offset:         48
        .size:           8
        .value_kind:     global_buffer
      - .actual_access:  read_only
        .address_space:  global
        .offset:         56
        .size:           8
        .value_kind:     global_buffer
      - .actual_access:  read_only
        .address_space:  global
        .offset:         64
        .size:           8
        .value_kind:     global_buffer
      - .actual_access:  read_only
        .address_space:  global
        .offset:         72
        .size:           8
        .value_kind:     global_buffer
      - .offset:         80
        .size:           8
        .value_kind:     by_value
      - .offset:         88
        .size:           8
        .value_kind:     by_value
      - .offset:         96
        .size:           8
        .value_kind:     by_value
      - .offset:         104
        .size:           8
        .value_kind:     by_value
      - .offset:         112
        .size:           8
        .value_kind:     by_value
      - .offset:         120
        .size:           8
        .value_kind:     by_value
      - .offset:         128
        .size:           8
        .value_kind:     by_value
      - .offset:         136
        .size:           8
        .value_kind:     by_value
      - .offset:         144
        .size:           8
        .value_kind:     by_value
      - .offset:         152
        .size:           8
        .value_kind:     by_value
      - .offset:         160
        .size:           8
        .value_kind:     by_value
      - .offset:         168
        .size:           8
        .value_kind:     by_value
      - .actual_access:  read_only
        .address_space:  global
        .offset:         176
        .size:           8
        .value_kind:     global_buffer
      - .offset:         184
        .size:           8
        .value_kind:     by_value
      - .offset:         192
        .size:           8
        .value_kind:     by_value
      - .offset:         200
        .size:           1
        .value_kind:     by_value
      - .offset:         208
        .size:           4
        .value_kind:     hidden_block_count_x
      - .offset:         212
        .size:           4
        .value_kind:     hidden_block_count_y
      - .offset:         216
        .size:           4
        .value_kind:     hidden_block_count_z
      - .offset:         220
        .size:           2
        .value_kind:     hidden_group_size_x
      - .offset:         222
        .size:           2
        .value_kind:     hidden_group_size_y
      - .offset:         224
        .size:           2
        .value_kind:     hidden_group_size_z
      - .offset:         226
        .size:           2
        .value_kind:     hidden_remainder_x
      - .offset:         228
        .size:           2
        .value_kind:     hidden_remainder_y
      - .offset:         230
        .size:           2
        .value_kind:     hidden_remainder_z
      - .offset:         248
        .size:           8
        .value_kind:     hidden_global_offset_x
      - .offset:         256
        .size:           8
        .value_kind:     hidden_global_offset_y
      - .offset:         264
        .size:           8
        .value_kind:     hidden_global_offset_z
      - .offset:         272
        .size:           2
        .value_kind:     hidden_grid_dims
    .group_segment_fixed_size: 0
    .kernarg_segment_align: 8
    .kernarg_segment_size: 464
    .language:       OpenCL C
    .language_version:
      - 2
      - 0
    .max_flat_workgroup_size: 1024
    .name:           _ZN2at6native12_GLOBAL__N_145ctc_loss_backward_collect_nonblank_gpu_kernelIflEEvPT_PKS3_lS6_S6_S6_PKlPKT0_S8_S6_llllllllllllS8_llb
    .private_segment_fixed_size: 0
    .sgpr_count:     52
    .sgpr_spill_count: 0
    .symbol:         _ZN2at6native12_GLOBAL__N_145ctc_loss_backward_collect_nonblank_gpu_kernelIflEEvPT_PKS3_lS6_S6_S6_PKlPKT0_S8_S6_llllllllllllS8_llb.kd
    .uniform_work_group_size: 1
    .uses_dynamic_stack: false
    .vgpr_count:     32
    .vgpr_spill_count: 0
    .wavefront_size: 64
  - .agpr_count:     0
    .args:
      - .address_space:  global
        .offset:         0
        .size:           8
        .value_kind:     global_buffer
      - .actual_access:  read_only
        .address_space:  global
        .offset:         8
        .size:           8
        .value_kind:     global_buffer
      - .offset:         16
        .size:           8
        .value_kind:     by_value
      - .actual_access:  read_only
        .address_space:  global
        .offset:         24
        .size:           8
        .value_kind:     global_buffer
      - .actual_access:  read_only
        .address_space:  global
        .offset:         32
        .size:           8
        .value_kind:     global_buffer
      - .address_space:  global
        .offset:         40
        .size:           8
        .value_kind:     global_buffer
      - .actual_access:  read_only
        .address_space:  global
        .offset:         48
        .size:           8
        .value_kind:     global_buffer
      - .offset:         56
        .size:           8
        .value_kind:     by_value
      - .actual_access:  read_only
        .address_space:  global
        .offset:         64
        .size:           8
        .value_kind:     global_buffer
      - .actual_access:  read_only
        .address_space:  global
        .offset:         72
        .size:           8
        .value_kind:     global_buffer
      - .offset:         80
        .size:           8
        .value_kind:     by_value
      - .actual_access:  read_only
        .address_space:  global
        .offset:         88
        .size:           8
        .value_kind:     global_buffer
      - .offset:         96
        .size:           8
        .value_kind:     by_value
      - .offset:         104
        .size:           8
        .value_kind:     by_value
      - .offset:         112
        .size:           8
        .value_kind:     by_value
      - .offset:         120
        .size:           8
        .value_kind:     by_value
      - .offset:         128
        .size:           8
        .value_kind:     by_value
      - .offset:         136
        .size:           8
        .value_kind:     by_value
      - .offset:         144
        .size:           8
        .value_kind:     by_value
      - .offset:         152
        .size:           8
        .value_kind:     by_value
      - .offset:         160
        .size:           8
        .value_kind:     by_value
      - .offset:         168
        .size:           8
        .value_kind:     by_value
      - .offset:         176
        .size:           8
        .value_kind:     by_value
      - .offset:         184
        .size:           8
        .value_kind:     by_value
      - .actual_access:  read_only
        .address_space:  global
        .offset:         192
        .size:           8
        .value_kind:     global_buffer
      - .offset:         200
        .size:           8
        .value_kind:     by_value
      - .offset:         208
        .size:           8
        .value_kind:     by_value
      - .offset:         216
        .size:           8
        .value_kind:     by_value
      - .offset:         224
        .size:           8
        .value_kind:     by_value
      - .offset:         232
        .size:           1
        .value_kind:     by_value
      - .offset:         240
        .size:           4
        .value_kind:     hidden_block_count_x
      - .offset:         244
        .size:           4
        .value_kind:     hidden_block_count_y
      - .offset:         248
        .size:           4
        .value_kind:     hidden_block_count_z
      - .offset:         252
        .size:           2
        .value_kind:     hidden_group_size_x
      - .offset:         254
        .size:           2
        .value_kind:     hidden_group_size_y
      - .offset:         256
        .size:           2
        .value_kind:     hidden_group_size_z
      - .offset:         258
        .size:           2
        .value_kind:     hidden_remainder_x
      - .offset:         260
        .size:           2
        .value_kind:     hidden_remainder_y
      - .offset:         262
        .size:           2
        .value_kind:     hidden_remainder_z
      - .offset:         280
        .size:           8
        .value_kind:     hidden_global_offset_x
      - .offset:         288
        .size:           8
        .value_kind:     hidden_global_offset_y
      - .offset:         296
        .size:           8
        .value_kind:     hidden_global_offset_z
      - .offset:         304
        .size:           2
        .value_kind:     hidden_grid_dims
    .group_segment_fixed_size: 0
    .kernarg_segment_align: 8
    .kernarg_segment_size: 496
    .language:       OpenCL C
    .language_version:
      - 2
      - 0
    .max_flat_workgroup_size: 1024
    .name:           _ZN2at6native12_GLOBAL__N_136ctc_loss_backward_collect_gpu_kernelIflEEvPT_PKS3_lS6_S6_S6_PKllPKT0_S8_lS6_llllllllllllS8_llllb
    .private_segment_fixed_size: 0
    .sgpr_count:     55
    .sgpr_spill_count: 0
    .symbol:         _ZN2at6native12_GLOBAL__N_136ctc_loss_backward_collect_gpu_kernelIflEEvPT_PKS3_lS6_S6_S6_PKllPKT0_S8_lS6_llllllllllllS8_llllb.kd
    .uniform_work_group_size: 1
    .uses_dynamic_stack: false
    .vgpr_count:     32
    .vgpr_spill_count: 0
    .wavefront_size: 64
  - .agpr_count:     0
    .args:
      - .actual_access:  write_only
        .address_space:  global
        .offset:         0
        .size:           8
        .value_kind:     global_buffer
      - .actual_access:  read_only
        .address_space:  global
        .offset:         8
        .size:           8
        .value_kind:     global_buffer
      - .offset:         16
        .size:           8
        .value_kind:     by_value
      - .offset:         24
        .size:           8
        .value_kind:     by_value
      - .offset:         32
        .size:           8
        .value_kind:     by_value
      - .offset:         40
        .size:           8
        .value_kind:     by_value
      - .offset:         48
        .size:           8
        .value_kind:     by_value
      - .offset:         56
        .size:           8
        .value_kind:     by_value
      - .offset:         64
        .size:           4
        .value_kind:     hidden_block_count_x
      - .offset:         68
        .size:           4
        .value_kind:     hidden_block_count_y
      - .offset:         72
        .size:           4
        .value_kind:     hidden_block_count_z
      - .offset:         76
        .size:           2
        .value_kind:     hidden_group_size_x
      - .offset:         78
        .size:           2
        .value_kind:     hidden_group_size_y
      - .offset:         80
        .size:           2
        .value_kind:     hidden_group_size_z
      - .offset:         82
        .size:           2
        .value_kind:     hidden_remainder_x
      - .offset:         84
        .size:           2
        .value_kind:     hidden_remainder_y
      - .offset:         86
        .size:           2
        .value_kind:     hidden_remainder_z
      - .offset:         104
        .size:           8
        .value_kind:     hidden_global_offset_x
      - .offset:         112
        .size:           8
        .value_kind:     hidden_global_offset_y
      - .offset:         120
        .size:           8
        .value_kind:     hidden_global_offset_z
      - .offset:         128
        .size:           2
        .value_kind:     hidden_grid_dims
    .group_segment_fixed_size: 0
    .kernarg_segment_align: 8
    .kernarg_segment_size: 320
    .language:       OpenCL C
    .language_version:
      - 2
      - 0
    .max_flat_workgroup_size: 1024
    .name:           _ZN2at6native12_GLOBAL__N_130ctc_loss_zero_padded_gradientsIfEEvPT_PKlllllll
    .private_segment_fixed_size: 0
    .sgpr_count:     22
    .sgpr_spill_count: 0
    .symbol:         _ZN2at6native12_GLOBAL__N_130ctc_loss_zero_padded_gradientsIfEEvPT_PKlllllll.kd
    .uniform_work_group_size: 1
    .uses_dynamic_stack: false
    .vgpr_count:     10
    .vgpr_spill_count: 0
    .wavefront_size: 64
  - .agpr_count:     0
    .args:
      - .address_space:  global
        .offset:         0
        .size:           8
        .value_kind:     global_buffer
      - .address_space:  global
        .offset:         8
        .size:           8
        .value_kind:     global_buffer
      - .actual_access:  read_only
        .address_space:  global
        .offset:         16
        .size:           8
        .value_kind:     global_buffer
      - .offset:         24
        .size:           8
        .value_kind:     by_value
      - .actual_access:  read_only
        .address_space:  global
        .offset:         32
        .size:           8
        .value_kind:     global_buffer
      - .actual_access:  read_only
        .address_space:  global
        .offset:         40
        .size:           8
        .value_kind:     global_buffer
      - .offset:         48
        .size:           8
        .value_kind:     by_value
      - .offset:         56
        .size:           8
        .value_kind:     by_value
      - .offset:         64
        .size:           8
        .value_kind:     by_value
      - .offset:         72
        .size:           8
        .value_kind:     by_value
      - .offset:         80
        .size:           8
        .value_kind:     by_value
      - .offset:         88
        .size:           8
        .value_kind:     by_value
      - .offset:         96
        .size:           8
        .value_kind:     by_value
      - .actual_access:  read_only
        .address_space:  global
        .offset:         104
        .size:           8
        .value_kind:     global_buffer
      - .offset:         112
        .size:           8
        .value_kind:     by_value
      - .offset:         120
        .size:           8
        .value_kind:     by_value
      - .offset:         128
        .size:           8
        .value_kind:     by_value
      - .offset:         136
        .size:           4
        .value_kind:     hidden_block_count_x
      - .offset:         140
        .size:           4
        .value_kind:     hidden_block_count_y
      - .offset:         144
        .size:           4
        .value_kind:     hidden_block_count_z
      - .offset:         148
        .size:           2
        .value_kind:     hidden_group_size_x
      - .offset:         150
        .size:           2
        .value_kind:     hidden_group_size_y
      - .offset:         152
        .size:           2
        .value_kind:     hidden_group_size_z
      - .offset:         154
        .size:           2
        .value_kind:     hidden_remainder_x
      - .offset:         156
        .size:           2
        .value_kind:     hidden_remainder_y
      - .offset:         158
        .size:           2
        .value_kind:     hidden_remainder_z
      - .offset:         176
        .size:           8
        .value_kind:     hidden_global_offset_x
      - .offset:         184
        .size:           8
        .value_kind:     hidden_global_offset_y
      - .offset:         192
        .size:           8
        .value_kind:     hidden_global_offset_z
      - .offset:         200
        .size:           2
        .value_kind:     hidden_grid_dims
    .group_segment_fixed_size: 0
    .kernarg_segment_align: 8
    .kernarg_segment_size: 392
    .language:       OpenCL C
    .language_version:
      - 2
      - 0
    .max_flat_workgroup_size: 1024
    .name:           _ZN2at6native12_GLOBAL__N_137ctc_loss_backward_log_beta_gpu_kernelIfiEEvPT_PKS3_PKllPKT0_S8_lllllllS8_lll
    .private_segment_fixed_size: 0
    .sgpr_count:     57
    .sgpr_spill_count: 0
    .symbol:         _ZN2at6native12_GLOBAL__N_137ctc_loss_backward_log_beta_gpu_kernelIfiEEvPT_PKS3_PKllPKT0_S8_lllllllS8_lll.kd
    .uniform_work_group_size: 1
    .uses_dynamic_stack: false
    .vgpr_count:     52
    .vgpr_spill_count: 0
    .wavefront_size: 64
  - .agpr_count:     0
    .args:
      - .address_space:  global
        .offset:         0
        .size:           8
        .value_kind:     global_buffer
      - .actual_access:  read_only
        .address_space:  global
        .offset:         8
        .size:           8
        .value_kind:     global_buffer
      - .offset:         16
        .size:           8
        .value_kind:     by_value
      - .actual_access:  read_only
        .address_space:  global
        .offset:         24
        .size:           8
        .value_kind:     global_buffer
      - .actual_access:  read_only
        .address_space:  global
        .offset:         32
        .size:           8
        .value_kind:     global_buffer
      - .address_space:  global
        .offset:         40
        .size:           8
        .value_kind:     global_buffer
      - .actual_access:  read_only
        .address_space:  global
        .offset:         48
        .size:           8
        .value_kind:     global_buffer
      - .actual_access:  read_only
        .address_space:  global
        .offset:         56
        .size:           8
        .value_kind:     global_buffer
      - .actual_access:  read_only
        .address_space:  global
        .offset:         64
        .size:           8
        .value_kind:     global_buffer
      - .actual_access:  read_only
        .address_space:  global
        .offset:         72
        .size:           8
        .value_kind:     global_buffer
      - .offset:         80
        .size:           8
        .value_kind:     by_value
      - .offset:         88
        .size:           8
        .value_kind:     by_value
      - .offset:         96
        .size:           8
        .value_kind:     by_value
      - .offset:         104
        .size:           8
        .value_kind:     by_value
      - .offset:         112
        .size:           8
        .value_kind:     by_value
      - .offset:         120
        .size:           8
        .value_kind:     by_value
      - .offset:         128
        .size:           8
        .value_kind:     by_value
      - .offset:         136
        .size:           8
        .value_kind:     by_value
      - .offset:         144
        .size:           8
        .value_kind:     by_value
      - .offset:         152
        .size:           8
        .value_kind:     by_value
      - .offset:         160
        .size:           8
        .value_kind:     by_value
      - .offset:         168
        .size:           8
        .value_kind:     by_value
      - .actual_access:  read_only
        .address_space:  global
        .offset:         176
        .size:           8
        .value_kind:     global_buffer
      - .offset:         184
        .size:           8
        .value_kind:     by_value
      - .offset:         192
        .size:           8
        .value_kind:     by_value
      - .offset:         200
        .size:           1
        .value_kind:     by_value
      - .offset:         208
        .size:           4
        .value_kind:     hidden_block_count_x
      - .offset:         212
        .size:           4
        .value_kind:     hidden_block_count_y
      - .offset:         216
        .size:           4
        .value_kind:     hidden_block_count_z
      - .offset:         220
        .size:           2
        .value_kind:     hidden_group_size_x
      - .offset:         222
        .size:           2
        .value_kind:     hidden_group_size_y
      - .offset:         224
        .size:           2
        .value_kind:     hidden_group_size_z
      - .offset:         226
        .size:           2
        .value_kind:     hidden_remainder_x
      - .offset:         228
        .size:           2
        .value_kind:     hidden_remainder_y
      - .offset:         230
        .size:           2
        .value_kind:     hidden_remainder_z
      - .offset:         248
        .size:           8
        .value_kind:     hidden_global_offset_x
      - .offset:         256
        .size:           8
        .value_kind:     hidden_global_offset_y
      - .offset:         264
        .size:           8
        .value_kind:     hidden_global_offset_z
      - .offset:         272
        .size:           2
        .value_kind:     hidden_grid_dims
    .group_segment_fixed_size: 0
    .kernarg_segment_align: 8
    .kernarg_segment_size: 464
    .language:       OpenCL C
    .language_version:
      - 2
      - 0
    .max_flat_workgroup_size: 1024
    .name:           _ZN2at6native12_GLOBAL__N_145ctc_loss_backward_collect_nonblank_gpu_kernelIfiEEvPT_PKS3_lS6_S6_S6_PKlPKT0_S8_S6_llllllllllllS8_llb
    .private_segment_fixed_size: 0
    .sgpr_count:     52
    .sgpr_spill_count: 0
    .symbol:         _ZN2at6native12_GLOBAL__N_145ctc_loss_backward_collect_nonblank_gpu_kernelIfiEEvPT_PKS3_lS6_S6_S6_PKlPKT0_S8_S6_llllllllllllS8_llb.kd
    .uniform_work_group_size: 1
    .uses_dynamic_stack: false
    .vgpr_count:     31
    .vgpr_spill_count: 0
    .wavefront_size: 64
  - .agpr_count:     0
    .args:
      - .address_space:  global
        .offset:         0
        .size:           8
        .value_kind:     global_buffer
      - .actual_access:  read_only
        .address_space:  global
        .offset:         8
        .size:           8
        .value_kind:     global_buffer
      - .offset:         16
        .size:           8
        .value_kind:     by_value
      - .actual_access:  read_only
        .address_space:  global
        .offset:         24
        .size:           8
        .value_kind:     global_buffer
      - .actual_access:  read_only
        .address_space:  global
        .offset:         32
        .size:           8
        .value_kind:     global_buffer
      - .address_space:  global
        .offset:         40
        .size:           8
        .value_kind:     global_buffer
      - .actual_access:  read_only
        .address_space:  global
        .offset:         48
        .size:           8
        .value_kind:     global_buffer
      - .offset:         56
        .size:           8
        .value_kind:     by_value
      - .actual_access:  read_only
        .address_space:  global
        .offset:         64
        .size:           8
        .value_kind:     global_buffer
      - .actual_access:  read_only
        .address_space:  global
        .offset:         72
        .size:           8
        .value_kind:     global_buffer
      - .offset:         80
        .size:           8
        .value_kind:     by_value
      - .actual_access:  read_only
        .address_space:  global
        .offset:         88
        .size:           8
        .value_kind:     global_buffer
      - .offset:         96
        .size:           8
        .value_kind:     by_value
      - .offset:         104
        .size:           8
        .value_kind:     by_value
      - .offset:         112
        .size:           8
        .value_kind:     by_value
      - .offset:         120
        .size:           8
        .value_kind:     by_value
      - .offset:         128
        .size:           8
        .value_kind:     by_value
      - .offset:         136
        .size:           8
        .value_kind:     by_value
      - .offset:         144
        .size:           8
        .value_kind:     by_value
      - .offset:         152
        .size:           8
        .value_kind:     by_value
      - .offset:         160
        .size:           8
        .value_kind:     by_value
      - .offset:         168
        .size:           8
        .value_kind:     by_value
      - .offset:         176
        .size:           8
        .value_kind:     by_value
      - .offset:         184
        .size:           8
        .value_kind:     by_value
      - .actual_access:  read_only
        .address_space:  global
        .offset:         192
        .size:           8
        .value_kind:     global_buffer
      - .offset:         200
        .size:           8
        .value_kind:     by_value
      - .offset:         208
        .size:           8
        .value_kind:     by_value
      - .offset:         216
        .size:           8
        .value_kind:     by_value
      - .offset:         224
        .size:           8
        .value_kind:     by_value
      - .offset:         232
        .size:           1
        .value_kind:     by_value
      - .offset:         240
        .size:           4
        .value_kind:     hidden_block_count_x
      - .offset:         244
        .size:           4
        .value_kind:     hidden_block_count_y
      - .offset:         248
        .size:           4
        .value_kind:     hidden_block_count_z
      - .offset:         252
        .size:           2
        .value_kind:     hidden_group_size_x
      - .offset:         254
        .size:           2
        .value_kind:     hidden_group_size_y
      - .offset:         256
        .size:           2
        .value_kind:     hidden_group_size_z
      - .offset:         258
        .size:           2
        .value_kind:     hidden_remainder_x
      - .offset:         260
        .size:           2
        .value_kind:     hidden_remainder_y
      - .offset:         262
        .size:           2
        .value_kind:     hidden_remainder_z
      - .offset:         280
        .size:           8
        .value_kind:     hidden_global_offset_x
      - .offset:         288
        .size:           8
        .value_kind:     hidden_global_offset_y
      - .offset:         296
        .size:           8
        .value_kind:     hidden_global_offset_z
      - .offset:         304
        .size:           2
        .value_kind:     hidden_grid_dims
    .group_segment_fixed_size: 0
    .kernarg_segment_align: 8
    .kernarg_segment_size: 496
    .language:       OpenCL C
    .language_version:
      - 2
      - 0
    .max_flat_workgroup_size: 1024
    .name:           _ZN2at6native12_GLOBAL__N_136ctc_loss_backward_collect_gpu_kernelIfiEEvPT_PKS3_lS6_S6_S6_PKllPKT0_S8_lS6_llllllllllllS8_llllb
    .private_segment_fixed_size: 0
    .sgpr_count:     55
    .sgpr_spill_count: 0
    .symbol:         _ZN2at6native12_GLOBAL__N_136ctc_loss_backward_collect_gpu_kernelIfiEEvPT_PKS3_lS6_S6_S6_PKllPKT0_S8_lS6_llllllllllllS8_llllb.kd
    .uniform_work_group_size: 1
    .uses_dynamic_stack: false
    .vgpr_count:     32
    .vgpr_spill_count: 0
    .wavefront_size: 64
amdhsa.target:   amdgcn-amd-amdhsa--gfx90a
amdhsa.version:
  - 1
  - 2
...

	.end_amdgpu_metadata
